;; amdgpu-corpus repo=ROCm/rocFFT kind=compiled arch=gfx950 opt=O3
	.text
	.amdgcn_target "amdgcn-amd-amdhsa--gfx950"
	.amdhsa_code_object_version 6
	.protected	fft_rtc_fwd_len224_factors_2_2_2_4_7_wgs_196_tpt_14_dim3_sp_ip_CI_sbcc_twdbase8_3step_dirReg ; -- Begin function fft_rtc_fwd_len224_factors_2_2_2_4_7_wgs_196_tpt_14_dim3_sp_ip_CI_sbcc_twdbase8_3step_dirReg
	.globl	fft_rtc_fwd_len224_factors_2_2_2_4_7_wgs_196_tpt_14_dim3_sp_ip_CI_sbcc_twdbase8_3step_dirReg
	.p2align	8
	.type	fft_rtc_fwd_len224_factors_2_2_2_4_7_wgs_196_tpt_14_dim3_sp_ip_CI_sbcc_twdbase8_3step_dirReg,@function
fft_rtc_fwd_len224_factors_2_2_2_4_7_wgs_196_tpt_14_dim3_sp_ip_CI_sbcc_twdbase8_3step_dirReg: ; @fft_rtc_fwd_len224_factors_2_2_2_4_7_wgs_196_tpt_14_dim3_sp_ip_CI_sbcc_twdbase8_3step_dirReg
; %bb.0:
	s_load_dwordx4 s[4:7], s[0:1], 0x10
	s_mov_b32 s3, 0
	s_waitcnt lgkmcnt(0)
	s_load_dwordx2 s[8:9], s[4:5], 0x8
	s_waitcnt lgkmcnt(0)
	s_add_u32 s10, s8, -1
	s_addc_u32 s11, s9, -1
	s_add_u32 s12, 0, 0x49240800
	s_addc_u32 s13, 0, 50
	s_mul_hi_u32 s15, s12, -14
	s_add_i32 s13, s13, 0x12492460
	s_sub_i32 s15, s15, s12
	s_mul_i32 s18, s13, -14
	s_mul_i32 s14, s12, -14
	s_add_i32 s15, s15, s18
	s_mul_hi_u32 s16, s13, s14
	s_mul_i32 s17, s13, s14
	s_mul_i32 s19, s12, s15
	s_mul_hi_u32 s14, s12, s14
	s_mul_hi_u32 s18, s12, s15
	s_add_u32 s14, s14, s19
	s_addc_u32 s18, 0, s18
	s_add_u32 s14, s14, s17
	s_mul_hi_u32 s19, s13, s15
	s_addc_u32 s14, s18, s16
	s_addc_u32 s16, s19, 0
	s_mul_i32 s15, s13, s15
	s_add_u32 s14, s14, s15
	v_mov_b32_e32 v1, s14
	s_addc_u32 s15, 0, s16
	v_add_co_u32_e32 v1, vcc, s12, v1
	s_cmp_lg_u64 vcc, 0
	s_addc_u32 s12, s13, s15
	v_readfirstlane_b32 s15, v1
	s_mul_i32 s14, s10, s12
	s_mul_hi_u32 s16, s10, s15
	s_mul_hi_u32 s13, s10, s12
	s_add_u32 s14, s16, s14
	s_addc_u32 s13, 0, s13
	s_mul_hi_u32 s17, s11, s15
	s_mul_i32 s15, s11, s15
	s_add_u32 s14, s14, s15
	s_mul_hi_u32 s16, s11, s12
	s_addc_u32 s13, s13, s17
	s_addc_u32 s14, s16, 0
	s_mul_i32 s12, s11, s12
	s_add_u32 s12, s13, s12
	s_addc_u32 s13, 0, s14
	s_add_u32 s14, s12, 1
	s_addc_u32 s15, s13, 0
	s_add_u32 s16, s12, 2
	s_mul_i32 s18, s13, 14
	s_mul_hi_u32 s19, s12, 14
	s_addc_u32 s17, s13, 0
	s_add_i32 s19, s19, s18
	s_mul_i32 s18, s12, 14
	v_mov_b32_e32 v1, s18
	v_sub_co_u32_e32 v1, vcc, s10, v1
	s_cmp_lg_u64 vcc, 0
	s_subb_u32 s10, s11, s19
	v_subrev_co_u32_e32 v2, vcc, 14, v1
	s_cmp_lg_u64 vcc, 0
	s_subb_u32 s11, s10, 0
	v_readfirstlane_b32 s18, v2
	s_cmp_gt_u32 s18, 13
	s_cselect_b32 s18, -1, 0
	s_cmp_eq_u32 s11, 0
	s_cselect_b32 s11, s18, -1
	s_cmp_lg_u32 s11, 0
	s_cselect_b32 s11, s16, s14
	s_cselect_b32 s14, s17, s15
	v_readfirstlane_b32 s15, v1
	s_cmp_gt_u32 s15, 13
	s_cselect_b32 s15, -1, 0
	s_cmp_eq_u32 s10, 0
	s_cselect_b32 s10, s15, -1
	s_cmp_lg_u32 s10, 0
	s_cselect_b32 s11, s11, s12
	s_cselect_b32 s10, s14, s13
	s_add_u32 s16, s11, 1
	s_addc_u32 s17, s10, 0
	v_mov_b64_e32 v[2:3], s[16:17]
	v_cmp_lt_u64_e32 vcc, s[2:3], v[2:3]
	s_mov_b64 s[18:19], 0
	s_cbranch_vccnz .LBB0_2
; %bb.1:
	v_cvt_f32_u32_e32 v1, s16
	s_sub_i32 s10, 0, s16
	s_mov_b32 s19, s3
	v_rcp_iflag_f32_e32 v1, v1
	s_nop 0
	v_mul_f32_e32 v1, 0x4f7ffffe, v1
	v_cvt_u32_f32_e32 v1, v1
	s_nop 0
	v_readfirstlane_b32 s11, v1
	s_mul_i32 s10, s10, s11
	s_mul_hi_u32 s10, s11, s10
	s_add_i32 s11, s11, s10
	s_mul_hi_u32 s10, s2, s11
	s_mul_i32 s12, s10, s16
	s_sub_i32 s12, s2, s12
	s_add_i32 s11, s10, 1
	s_sub_i32 s13, s12, s16
	s_cmp_ge_u32 s12, s16
	s_cselect_b32 s10, s11, s10
	s_cselect_b32 s12, s13, s12
	s_add_i32 s11, s10, 1
	s_cmp_ge_u32 s12, s16
	s_cselect_b32 s18, s11, s10
.LBB0_2:
	s_load_dwordx2 s[14:15], s[4:5], 0x10
	s_load_dwordx2 s[10:11], s[6:7], 0x8
	s_mov_b64 s[20:21], s[18:19]
	s_waitcnt lgkmcnt(0)
	v_mov_b64_e32 v[2:3], s[14:15]
	v_cmp_lt_u64_e32 vcc, s[18:19], v[2:3]
	s_cbranch_vccnz .LBB0_4
; %bb.3:
	v_cvt_f32_u32_e32 v1, s14
	s_sub_i32 s4, 0, s14
	v_rcp_iflag_f32_e32 v1, v1
	s_nop 0
	v_mul_f32_e32 v1, 0x4f7ffffe, v1
	v_cvt_u32_f32_e32 v1, v1
	s_nop 0
	v_readfirstlane_b32 s5, v1
	s_mul_i32 s4, s4, s5
	s_mul_hi_u32 s4, s5, s4
	s_add_i32 s5, s5, s4
	s_mul_hi_u32 s4, s18, s5
	s_mul_i32 s4, s4, s14
	s_sub_i32 s4, s18, s4
	s_sub_i32 s5, s4, s14
	s_cmp_ge_u32 s4, s14
	s_cselect_b32 s4, s5, s4
	s_sub_i32 s5, s4, s14
	s_cmp_ge_u32 s4, s14
	s_cselect_b32 s20, s5, s4
.LBB0_4:
	s_mul_i32 s4, s14, s17
	s_mul_hi_u32 s5, s14, s16
	s_add_i32 s4, s5, s4
	s_mul_i32 s5, s15, s16
	s_load_dwordx2 s[12:13], s[0:1], 0x50
	s_add_i32 s15, s4, s5
	s_load_dwordx2 s[4:5], s[6:7], 0x0
	s_load_dwordx2 s[22:23], s[6:7], 0x10
	s_mul_i32 s14, s14, s16
	v_mov_b64_e32 v[2:3], s[14:15]
	v_cmp_lt_u64_e32 vcc, s[2:3], v[2:3]
	s_mov_b64 s[24:25], 0
	s_cbranch_vccnz .LBB0_6
; %bb.5:
	v_cvt_f32_u32_e32 v1, s14
	s_sub_i32 s3, 0, s14
	v_rcp_iflag_f32_e32 v1, v1
	s_nop 0
	v_mul_f32_e32 v1, 0x4f7ffffe, v1
	v_cvt_u32_f32_e32 v1, v1
	s_nop 0
	v_readfirstlane_b32 s15, v1
	s_mul_i32 s3, s3, s15
	s_mul_hi_u32 s3, s15, s3
	s_add_i32 s15, s15, s3
	s_mul_hi_u32 s3, s2, s15
	s_mul_i32 s19, s3, s14
	s_sub_i32 s19, s2, s19
	s_add_i32 s15, s3, 1
	s_sub_i32 s21, s19, s14
	s_cmp_ge_u32 s19, s14
	s_cselect_b32 s3, s15, s3
	s_cselect_b32 s19, s21, s19
	s_add_i32 s15, s3, 1
	s_cmp_ge_u32 s19, s14
	s_cselect_b32 s24, s15, s3
.LBB0_6:
	s_mul_i32 s3, s18, s17
	s_mul_hi_u32 s17, s18, s16
	s_add_i32 s17, s17, s3
	s_mul_i32 s3, s18, s16
	s_sub_u32 s16, s2, s3
	s_subb_u32 s2, 0, s17
	s_mul_i32 s17, s2, 14
	s_mul_hi_u32 s2, s16, 14
	s_add_i32 s18, s2, s17
	s_mul_i32 s19, s16, 14
	s_mul_i32 s2, s10, s18
	s_mul_hi_u32 s3, s10, s19
	s_add_i32 s2, s3, s2
	s_mul_i32 s3, s11, s19
	s_add_i32 s21, s2, s3
	s_load_dwordx2 s[2:3], s[6:7], 0x18
	s_waitcnt lgkmcnt(0)
	s_mul_i32 s23, s23, s20
	s_mul_hi_u32 s26, s22, s20
	s_mul_i32 s25, s10, s19
	s_add_i32 s26, s26, s23
	s_mul_i32 s6, s22, s20
	s_add_u32 s6, s6, s25
	s_mul_i32 s3, s3, s24
	s_mul_hi_u32 s20, s2, s24
	v_mul_u32_u24_e32 v1, 0x124a, v0
	s_addc_u32 s7, s26, s21
	s_add_i32 s20, s20, s3
	s_mul_i32 s2, s2, s24
	v_lshrrev_b32_e32 v63, 16, v1
	s_add_u32 s6, s2, s6
	v_mul_lo_u16_e32 v1, 14, v63
	s_load_dwordx2 s[14:15], s[0:1], 0x0
	s_addc_u32 s7, s20, s7
	v_sub_u16_e32 v58, v0, v1
	v_mov_b32_e32 v59, 0
	v_mad_u64_u32 v[60:61], s[2:3], s16, 14, v[58:59]
	s_add_u32 s16, s19, 14
	v_add_u32_e32 v61, s17, v61
	s_addc_u32 s17, s18, 0
	v_mov_b64_e32 v[2:3], s[8:9]
	v_cmp_gt_u64_e32 vcc, s[16:17], v[2:3]
	v_cmp_le_u64_e64 s[2:3], s[16:17], v[2:3]
	s_and_b64 vcc, exec, vcc
	v_add_u32_e32 v38, 14, v63
	v_add_u32_e32 v39, 28, v63
	;; [unrolled: 1-line block ×4, first 2 shown]
	s_cbranch_vccnz .LBB0_8
; %bb.7:
	v_mad_u64_u32 v[2:3], s[16:17], s10, v58, 0
	v_mov_b32_e32 v4, v3
	v_mad_u64_u32 v[4:5], s[16:17], s11, v58, v[4:5]
	v_mov_b32_e32 v3, v4
	;; [unrolled: 2-line block ×3, first 2 shown]
	v_mad_u64_u32 v[6:7], s[16:17], s5, v63, v[6:7]
	s_lshl_b64 s[16:17], s[6:7], 3
	s_add_u32 s16, s12, s16
	s_addc_u32 s17, s13, s17
	v_add_u32_e32 v1, 0x70, v63
	v_mov_b32_e32 v5, v6
	v_lshl_add_u64 v[26:27], v[2:3], 3, s[16:17]
	v_mad_u64_u32 v[2:3], s[16:17], s4, v1, 0
	v_lshl_add_u64 v[10:11], v[4:5], 3, v[26:27]
	v_mov_b32_e32 v4, v3
	v_mad_u64_u32 v[4:5], s[16:17], s5, v1, v[4:5]
	v_mov_b32_e32 v3, v4
	v_add_u32_e32 v62, 14, v63
	v_lshl_add_u64 v[12:13], v[2:3], 3, v[26:27]
	v_mad_u64_u32 v[2:3], s[16:17], s4, v62, 0
	v_mov_b32_e32 v4, v3
	v_mad_u64_u32 v[4:5], s[16:17], s5, v62, v[4:5]
	v_mov_b32_e32 v3, v4
	v_add_u32_e32 v1, 0x7e, v63
	v_lshl_add_u64 v[14:15], v[2:3], 3, v[26:27]
	v_mad_u64_u32 v[2:3], s[16:17], s4, v1, 0
	v_mov_b32_e32 v4, v3
	v_mad_u64_u32 v[4:5], s[16:17], s5, v1, v[4:5]
	v_mov_b32_e32 v3, v4
	v_add_u32_e32 v59, 28, v63
	v_lshl_add_u64 v[16:17], v[2:3], 3, v[26:27]
	global_load_dwordx2 v[2:3], v[10:11], off
	global_load_dwordx2 v[6:7], v[12:13], off
	global_load_dwordx2 v[4:5], v[14:15], off
	global_load_dwordx2 v[8:9], v[16:17], off
	v_mad_u64_u32 v[10:11], s[16:17], s4, v59, 0
	v_mov_b32_e32 v12, v11
	v_mad_u64_u32 v[12:13], s[16:17], s5, v59, v[12:13]
	v_mov_b32_e32 v11, v12
	v_add_u32_e32 v1, 0x8c, v63
	v_lshl_add_u64 v[18:19], v[10:11], 3, v[26:27]
	v_mad_u64_u32 v[10:11], s[16:17], s4, v1, 0
	v_mov_b32_e32 v12, v11
	v_mad_u64_u32 v[12:13], s[16:17], s5, v1, v[12:13]
	v_mov_b32_e32 v11, v12
	v_add_u32_e32 v1, 42, v63
	v_lshl_add_u64 v[20:21], v[10:11], 3, v[26:27]
	v_mad_u64_u32 v[10:11], s[16:17], s4, v1, 0
	v_mov_b32_e32 v12, v11
	v_mad_u64_u32 v[12:13], s[16:17], s5, v1, v[12:13]
	v_mov_b32_e32 v11, v12
	v_add_u32_e32 v13, 0x9a, v63
	v_lshl_add_u64 v[22:23], v[10:11], 3, v[26:27]
	v_mad_u64_u32 v[10:11], s[16:17], s4, v13, 0
	v_mov_b32_e32 v12, v11
	v_mad_u64_u32 v[12:13], s[16:17], s5, v13, v[12:13]
	v_mov_b32_e32 v11, v12
	v_add_u32_e32 v37, 56, v63
	v_lshl_add_u64 v[24:25], v[10:11], 3, v[26:27]
	global_load_dwordx2 v[10:11], v[18:19], off
	global_load_dwordx2 v[14:15], v[20:21], off
	global_load_dwordx2 v[12:13], v[22:23], off
	global_load_dwordx2 v[16:17], v[24:25], off
	v_mad_u64_u32 v[18:19], s[16:17], s4, v37, 0
	v_mov_b32_e32 v20, v19
	v_mad_u64_u32 v[20:21], s[16:17], s5, v37, v[20:21]
	v_mov_b32_e32 v19, v20
	v_add_u32_e32 v21, 0xa8, v63
	v_lshl_add_u64 v[28:29], v[18:19], 3, v[26:27]
	v_mad_u64_u32 v[18:19], s[16:17], s4, v21, 0
	;; [unrolled: 28-line block ×3, first 2 shown]
	v_mov_b32_e32 v30, v29
	v_mad_u64_u32 v[30:31], s[16:17], s5, v31, v[30:31]
	v_mov_b32_e32 v29, v30
	v_add_u32_e32 v35, 0x62, v63
	v_lshl_add_u64 v[44:45], v[28:29], 3, v[26:27]
	v_mad_u64_u32 v[28:29], s[16:17], s4, v35, 0
	v_mov_b32_e32 v30, v29
	v_mad_u64_u32 v[30:31], s[16:17], s5, v35, v[30:31]
	v_mov_b32_e32 v29, v30
	v_add_u32_e32 v31, 0xd2, v63
	v_lshl_add_u64 v[46:47], v[28:29], 3, v[26:27]
	v_mad_u64_u32 v[28:29], s[16:17], s4, v31, 0
	v_mov_b32_e32 v30, v29
	v_mad_u64_u32 v[30:31], s[16:17], s5, v31, v[30:31]
	v_mov_b32_e32 v29, v30
	v_lshl_add_u64 v[48:49], v[28:29], 3, v[26:27]
	global_load_dwordx2 v[26:27], v[42:43], off
	global_load_dwordx2 v[30:31], v[44:45], off
	;; [unrolled: 1-line block ×4, first 2 shown]
	s_cbranch_execz .LBB0_9
	s_branch .LBB0_14
.LBB0_8:
                                        ; implicit-def: $vgpr7
                                        ; implicit-def: $vgpr3
                                        ; implicit-def: $vgpr9
                                        ; implicit-def: $vgpr5
                                        ; implicit-def: $vgpr15
                                        ; implicit-def: $vgpr11
                                        ; implicit-def: $vgpr17
                                        ; implicit-def: $vgpr13
                                        ; implicit-def: $vgpr23
                                        ; implicit-def: $vgpr19
                                        ; implicit-def: $vgpr25
                                        ; implicit-def: $vgpr21
                                        ; implicit-def: $vgpr31
                                        ; implicit-def: $vgpr27
                                        ; implicit-def: $vgpr33
                                        ; implicit-def: $vgpr29
                                        ; implicit-def: $vgpr62
                                        ; implicit-def: $vgpr59
                                        ; implicit-def: $vgpr1
                                        ; implicit-def: $vgpr37
                                        ; implicit-def: $vgpr34
                                        ; implicit-def: $vgpr36
                                        ; implicit-def: $vgpr35
.LBB0_9:
	v_cmp_le_u64_e32 vcc, s[8:9], v[60:61]
                                        ; implicit-def: $vgpr62
                                        ; implicit-def: $vgpr59
                                        ; implicit-def: $vgpr1
                                        ; implicit-def: $vgpr37
                                        ; implicit-def: $vgpr34
                                        ; implicit-def: $vgpr36
                                        ; implicit-def: $vgpr35
	s_and_saveexec_b64 s[16:17], vcc
	s_xor_b64 s[16:17], exec, s[16:17]
; %bb.10:
	v_add_u32_e32 v62, 14, v63
	v_add_u32_e32 v59, 28, v63
	;; [unrolled: 1-line block ×7, first 2 shown]
                                        ; implicit-def: $vgpr38
                                        ; implicit-def: $vgpr39
                                        ; implicit-def: $vgpr40
                                        ; implicit-def: $vgpr41
; %bb.11:
	s_or_saveexec_b64 s[16:17], s[16:17]
                                        ; implicit-def: $vgpr7
                                        ; implicit-def: $vgpr3
                                        ; implicit-def: $vgpr9
                                        ; implicit-def: $vgpr5
                                        ; implicit-def: $vgpr15
                                        ; implicit-def: $vgpr11
                                        ; implicit-def: $vgpr17
                                        ; implicit-def: $vgpr13
                                        ; implicit-def: $vgpr23
                                        ; implicit-def: $vgpr19
                                        ; implicit-def: $vgpr25
                                        ; implicit-def: $vgpr21
                                        ; implicit-def: $vgpr31
                                        ; implicit-def: $vgpr27
                                        ; implicit-def: $vgpr33
                                        ; implicit-def: $vgpr29
	s_xor_b64 exec, exec, s[16:17]
	s_cbranch_execz .LBB0_13
; %bb.12:
	s_waitcnt vmcnt(15)
	v_mad_u64_u32 v[2:3], s[18:19], s10, v58, 0
	s_waitcnt vmcnt(13)
	v_mov_b32_e32 v4, v3
	v_mad_u64_u32 v[4:5], s[18:19], s11, v58, v[4:5]
	v_mov_b32_e32 v3, v4
	v_mad_u64_u32 v[4:5], s[18:19], s4, v63, 0
	;; [unrolled: 2-line block ×3, first 2 shown]
	s_lshl_b64 s[18:19], s[6:7], 3
	s_add_u32 s18, s12, s18
	s_addc_u32 s19, s13, s19
	v_add_u32_e32 v1, 0x70, v63
	v_mov_b32_e32 v5, v6
	s_waitcnt vmcnt(3)
	v_lshl_add_u64 v[26:27], v[2:3], 3, s[18:19]
	v_mad_u64_u32 v[2:3], s[18:19], s4, v1, 0
	v_lshl_add_u64 v[10:11], v[4:5], 3, v[26:27]
	v_mov_b32_e32 v4, v3
	v_mad_u64_u32 v[4:5], s[18:19], s5, v1, v[4:5]
	v_mov_b32_e32 v3, v4
	v_lshl_add_u64 v[12:13], v[2:3], 3, v[26:27]
	v_mad_u64_u32 v[2:3], s[18:19], s4, v38, 0
	v_mov_b32_e32 v4, v3
	v_mad_u64_u32 v[4:5], s[18:19], s5, v38, v[4:5]
	v_mov_b32_e32 v3, v4
	v_add_u32_e32 v1, 0x7e, v63
	v_lshl_add_u64 v[14:15], v[2:3], 3, v[26:27]
	v_mad_u64_u32 v[2:3], s[18:19], s4, v1, 0
	v_mov_b32_e32 v4, v3
	v_mad_u64_u32 v[4:5], s[18:19], s5, v1, v[4:5]
	v_mov_b32_e32 v3, v4
	v_lshl_add_u64 v[16:17], v[2:3], 3, v[26:27]
	global_load_dwordx2 v[2:3], v[10:11], off
	global_load_dwordx2 v[6:7], v[12:13], off
	;; [unrolled: 1-line block ×4, first 2 shown]
	v_mad_u64_u32 v[10:11], s[18:19], s4, v39, 0
	v_mov_b32_e32 v12, v11
	v_mad_u64_u32 v[12:13], s[18:19], s5, v39, v[12:13]
	v_mov_b32_e32 v11, v12
	v_add_u32_e32 v1, 0x8c, v63
	v_lshl_add_u64 v[18:19], v[10:11], 3, v[26:27]
	v_mad_u64_u32 v[10:11], s[18:19], s4, v1, 0
	v_mov_b32_e32 v12, v11
	v_mad_u64_u32 v[12:13], s[18:19], s5, v1, v[12:13]
	v_mov_b32_e32 v11, v12
	v_lshl_add_u64 v[20:21], v[10:11], 3, v[26:27]
	v_mad_u64_u32 v[10:11], s[18:19], s4, v40, 0
	v_mov_b32_e32 v12, v11
	v_mad_u64_u32 v[12:13], s[18:19], s5, v40, v[12:13]
	v_mov_b32_e32 v11, v12
	v_add_u32_e32 v1, 0x9a, v63
	v_lshl_add_u64 v[22:23], v[10:11], 3, v[26:27]
	v_mad_u64_u32 v[10:11], s[18:19], s4, v1, 0
	v_mov_b32_e32 v12, v11
	v_mad_u64_u32 v[12:13], s[18:19], s5, v1, v[12:13]
	v_mov_b32_e32 v11, v12
	v_lshl_add_u64 v[24:25], v[10:11], 3, v[26:27]
	global_load_dwordx2 v[10:11], v[18:19], off
	global_load_dwordx2 v[14:15], v[20:21], off
	;; [unrolled: 1-line block ×4, first 2 shown]
	v_mad_u64_u32 v[18:19], s[18:19], s4, v41, 0
	v_mov_b32_e32 v20, v19
	v_mad_u64_u32 v[20:21], s[18:19], s5, v41, v[20:21]
	v_mov_b32_e32 v19, v20
	v_add_u32_e32 v1, 0xa8, v63
	s_waitcnt vmcnt(9)
	v_lshl_add_u64 v[28:29], v[18:19], 3, v[26:27]
	v_mad_u64_u32 v[18:19], s[18:19], s4, v1, 0
	v_mov_b32_e32 v20, v19
	v_mad_u64_u32 v[20:21], s[18:19], s5, v1, v[20:21]
	v_mov_b32_e32 v19, v20
	v_add_u32_e32 v34, 0x46, v63
	v_lshl_add_u64 v[30:31], v[18:19], 3, v[26:27]
	v_mad_u64_u32 v[18:19], s[18:19], s4, v34, 0
	v_mov_b32_e32 v20, v19
	v_mad_u64_u32 v[20:21], s[18:19], s5, v34, v[20:21]
	v_mov_b32_e32 v19, v20
	v_add_u32_e32 v1, 0xb6, v63
	s_waitcnt vmcnt(8)
	v_lshl_add_u64 v[32:33], v[18:19], 3, v[26:27]
	v_mad_u64_u32 v[18:19], s[18:19], s4, v1, 0
	v_mov_b32_e32 v20, v19
	v_mad_u64_u32 v[20:21], s[18:19], s5, v1, v[20:21]
	v_mov_b32_e32 v19, v20
	v_lshl_add_u64 v[36:37], v[18:19], 3, v[26:27]
	global_load_dwordx2 v[18:19], v[28:29], off
	global_load_dwordx2 v[22:23], v[30:31], off
	;; [unrolled: 1-line block ×4, first 2 shown]
	v_add_u32_e32 v36, 0x54, v63
	v_mad_u64_u32 v[28:29], s[18:19], s4, v36, 0
	v_mov_b32_e32 v30, v29
	v_mad_u64_u32 v[30:31], s[18:19], s5, v36, v[30:31]
	v_mov_b32_e32 v29, v30
	v_add_u32_e32 v1, 0xc4, v63
	v_lshl_add_u64 v[42:43], v[28:29], 3, v[26:27]
	v_mad_u64_u32 v[28:29], s[18:19], s4, v1, 0
	v_mov_b32_e32 v30, v29
	v_mad_u64_u32 v[30:31], s[18:19], s5, v1, v[30:31]
	v_mov_b32_e32 v29, v30
	v_add_u32_e32 v35, 0x62, v63
	v_lshl_add_u64 v[44:45], v[28:29], 3, v[26:27]
	;; [unrolled: 6-line block ×3, first 2 shown]
	v_mad_u64_u32 v[28:29], s[18:19], s4, v1, 0
	v_mov_b32_e32 v30, v29
	v_mad_u64_u32 v[30:31], s[18:19], s5, v1, v[30:31]
	v_mov_b32_e32 v29, v30
	v_lshl_add_u64 v[48:49], v[28:29], 3, v[26:27]
	global_load_dwordx2 v[26:27], v[42:43], off
	global_load_dwordx2 v[30:31], v[44:45], off
	;; [unrolled: 1-line block ×4, first 2 shown]
	v_mov_b32_e32 v62, v38
	v_mov_b32_e32 v59, v39
	;; [unrolled: 1-line block ×4, first 2 shown]
.LBB0_13:
	s_or_b64 exec, exec, s[16:17]
.LBB0_14:
	s_waitcnt vmcnt(14)
	v_pk_add_f32 v[38:39], v[2:3], v[6:7] neg_lo:[0,1] neg_hi:[0,1]
	v_mul_u32_u24_e32 v7, 0xe0, v63
	v_lshlrev_b32_e32 v6, 3, v58
	v_add3_u32 v7, 0, v7, v6
	v_pk_fma_f32 v[2:3], v[2:3], 2.0, v[38:39] op_sel_hi:[1,0,1] neg_lo:[0,0,1] neg_hi:[0,0,1]
	s_waitcnt vmcnt(12)
	v_pk_add_f32 v[8:9], v[4:5], v[8:9] neg_lo:[0,1] neg_hi:[0,1]
	ds_write2_b64 v7, v[2:3], v[38:39] offset1:14
	v_mul_i32_i24_e32 v2, 0xe0, v62
	v_add3_u32 v7, 0, v2, v6
	v_pk_fma_f32 v[2:3], v[4:5], 2.0, v[8:9] op_sel_hi:[1,0,1] neg_lo:[0,0,1] neg_hi:[0,0,1]
	s_waitcnt vmcnt(10)
	v_pk_add_f32 v[14:15], v[10:11], v[14:15] neg_lo:[0,1] neg_hi:[0,1]
	ds_write2_b64 v7, v[2:3], v[8:9] offset1:14
	v_mul_i32_i24_e32 v2, 0xe0, v59
	;; [unrolled: 6-line block ×7, first 2 shown]
	v_add3_u32 v4, 0, v2, v6
	v_pk_fma_f32 v[2:3], v[28:29], 2.0, v[32:33] op_sel_hi:[1,0,1] neg_lo:[0,0,1] neg_hi:[0,0,1]
	v_and_b32_e32 v7, 1, v63
	ds_write2_b64 v4, v[2:3], v[32:33] offset1:14
	v_lshlrev_b32_e32 v2, 3, v7
	s_waitcnt lgkmcnt(0)
	s_barrier
	global_load_dwordx2 v[8:9], v2, s[14:15]
	v_mul_u32_u24_e32 v2, 0x70, v63
	v_mul_i32_i24_e32 v3, 0x70, v62
	v_mul_i32_i24_e32 v10, 0x70, v59
	;; [unrolled: 1-line block ×7, first 2 shown]
	v_add3_u32 v4, 0, v2, v6
	v_add3_u32 v5, 0, v3, v6
	;; [unrolled: 1-line block ×8, first 2 shown]
	v_add_u32_e32 v57, 0x3000, v4
	ds_read_b64 v[24:25], v4 offset:21952
	ds_read_b64 v[20:21], v4
	ds_read_b64 v[26:27], v10
	;; [unrolled: 1-line block ×6, first 2 shown]
	ds_read2_b64 v[12:15], v57 offset0:32 offset1:228
	ds_read_b64 v[40:41], v55
	ds_read_b64 v[42:43], v56
	v_add_u32_e32 v64, 0x3c00, v4
	v_add_u32_e32 v22, 0x5800, v4
	v_lshlrev_b32_e32 v54, 1, v63
	ds_read2_b64 v[16:19], v64 offset0:40 offset1:236
	ds_read2_b32 v[44:45], v22 offset0:248 offset1:249
	v_and_or_b32 v48, v54, 60, v7
	v_add_u32_e32 v65, 0x4800, v4
	v_lshlrev_b32_e32 v66, 1, v62
	s_movk_i32 s16, 0x7ffc
	v_lshlrev_b32_e32 v67, 1, v1
	v_lshlrev_b32_e32 v69, 1, v37
	;; [unrolled: 1-line block ×5, first 2 shown]
	v_cmp_lt_u32_e32 vcc, 55, v0
	s_waitcnt vmcnt(0) lgkmcnt(4)
	v_pk_mul_f32 v[22:23], v[8:9], v[12:13] op_sel:[0,1]
	s_nop 0
	v_pk_fma_f32 v[46:47], v[8:9], v[12:13], v[22:23] op_sel:[0,0,1] op_sel_hi:[1,1,0] neg_lo:[0,0,1] neg_hi:[0,0,1]
	v_pk_fma_f32 v[12:13], v[8:9], v[12:13], v[22:23] op_sel:[0,0,1] op_sel_hi:[1,0,0]
	s_nop 0
	v_mov_b32_e32 v47, v13
	v_mul_u32_u24_e32 v12, 0x70, v48
	v_add3_u32 v48, 0, v12, v6
	v_pk_add_f32 v[12:13], v[20:21], v[46:47] neg_lo:[0,1] neg_hi:[0,1]
	s_nop 0
	v_pk_fma_f32 v[46:47], v[20:21], 2.0, v[12:13] op_sel_hi:[1,0,1] neg_lo:[0,0,1] neg_hi:[0,0,1]
	ds_read2_b64 v[20:23], v65 offset0:48 offset1:244
	s_waitcnt lgkmcnt(0)
	s_barrier
	ds_write2_b64 v48, v[46:47], v[12:13] offset1:28
	v_pk_mul_f32 v[12:13], v[8:9], v[14:15] op_sel:[0,1]
	s_nop 0
	v_pk_fma_f32 v[46:47], v[8:9], v[14:15], v[12:13] op_sel:[0,0,1] op_sel_hi:[1,1,0] neg_lo:[0,0,1] neg_hi:[0,0,1]
	v_pk_fma_f32 v[12:13], v[8:9], v[14:15], v[12:13] op_sel:[0,0,1] op_sel_hi:[1,0,0]
	s_nop 0
	v_and_or_b32 v12, v66, s16, v7
	v_mov_b32_e32 v47, v13
	v_mul_u32_u24_e32 v12, 0x70, v12
	v_pk_add_f32 v[14:15], v[28:29], v[46:47] neg_lo:[0,1] neg_hi:[0,1]
	v_add3_u32 v48, 0, v12, v6
	v_pk_mul_f32 v[12:13], v[8:9], v[22:23] op_sel:[0,1]
	v_pk_fma_f32 v[28:29], v[28:29], 2.0, v[14:15] op_sel_hi:[1,0,1] neg_lo:[0,0,1] neg_hi:[0,0,1]
	ds_write2_b64 v48, v[28:29], v[14:15] offset1:28
	v_pk_fma_f32 v[14:15], v[8:9], v[22:23], v[12:13] op_sel:[0,0,1] op_sel_hi:[1,1,0] neg_lo:[0,0,1] neg_hi:[0,0,1]
	v_pk_fma_f32 v[12:13], v[8:9], v[22:23], v[12:13] op_sel:[0,0,1] op_sel_hi:[1,0,0]
	v_pk_mul_f32 v[22:23], v[8:9], v[20:21] op_sel:[0,1]
	v_mov_b32_e32 v12, v45
	v_pk_fma_f32 v[28:29], v[8:9], v[20:21], v[22:23] op_sel:[0,0,1] op_sel_hi:[1,1,0] neg_lo:[0,0,1] neg_hi:[0,0,1]
	v_pk_fma_f32 v[20:21], v[8:9], v[20:21], v[22:23] op_sel:[0,0,1] op_sel_hi:[1,0,0]
	v_pk_mul_f32 v[22:23], v[8:9], v[18:19] op_sel:[0,1]
	v_mov_b32_e32 v29, v21
	;; [unrolled: 4-line block ×3, first 2 shown]
	v_pk_fma_f32 v[48:49], v[8:9], v[16:17], v[22:23] op_sel:[0,0,1] op_sel_hi:[1,1,0] neg_lo:[0,0,1] neg_hi:[0,0,1]
	v_pk_fma_f32 v[16:17], v[8:9], v[16:17], v[22:23] op_sel:[0,0,1] op_sel_hi:[1,0,0]
	v_pk_mul_f32 v[22:23], v[12:13], v[8:9] op_sel_hi:[0,1]
	v_pk_fma_f32 v[50:51], v[8:9], v[44:45], v[22:23] op_sel:[0,0,1] op_sel_hi:[1,1,0] neg_lo:[0,0,1] neg_hi:[0,0,1]
	v_pk_fma_f32 v[22:23], v[8:9], v[44:45], v[22:23] op_sel:[0,0,1] op_sel_hi:[1,0,0]
	v_pk_mul_f32 v[44:45], v[8:9], v[24:25] op_sel:[0,1]
	v_mov_b32_e32 v51, v23
	v_pk_fma_f32 v[52:53], v[8:9], v[24:25], v[44:45] op_sel:[0,0,1] op_sel_hi:[1,1,0] neg_lo:[0,0,1] neg_hi:[0,0,1]
	v_pk_fma_f32 v[8:9], v[8:9], v[24:25], v[44:45] op_sel:[0,0,1] op_sel_hi:[1,0,0]
	v_lshlrev_b32_e32 v44, 1, v59
	v_and_or_b32 v8, v44, s16, v7
	v_mul_u32_u24_e32 v8, 0x70, v8
	v_add3_u32 v45, 0, v8, v6
	v_and_or_b32 v8, v67, s16, v7
	v_mul_u32_u24_e32 v8, 0x70, v8
	v_add3_u32 v68, 0, v8, v6
	;; [unrolled: 3-line block ×4, first 2 shown]
	v_mov_b32_e32 v49, v17
	v_and_or_b32 v8, v72, s16, v7
	v_and_or_b32 v7, v73, s16, v7
	v_pk_add_f32 v[22:23], v[32:33], v[28:29] neg_lo:[0,1] neg_hi:[0,1]
	v_mov_b32_e32 v53, v9
	v_mov_b32_e32 v47, v19
	v_mul_u32_u24_e32 v8, 0x70, v8
	v_mul_u32_u24_e32 v7, 0x70, v7
	v_pk_fma_f32 v[24:25], v[32:33], 2.0, v[22:23] op_sel_hi:[1,0,1] neg_lo:[0,0,1] neg_hi:[0,0,1]
	v_pk_add_f32 v[32:33], v[26:27], v[48:49] neg_lo:[0,1] neg_hi:[0,1]
	v_add3_u32 v36, 0, v8, v6
	v_add3_u32 v7, 0, v7, v6
	v_pk_add_f32 v[8:9], v[42:43], v[50:51] neg_lo:[0,1] neg_hi:[0,1]
	v_pk_add_f32 v[16:17], v[40:41], v[52:53] neg_lo:[0,1] neg_hi:[0,1]
	;; [unrolled: 1-line block ×4, first 2 shown]
	v_pk_fma_f32 v[26:27], v[26:27], 2.0, v[32:33] op_sel_hi:[1,0,1] neg_lo:[0,0,1] neg_hi:[0,0,1]
	v_pk_fma_f32 v[12:13], v[42:43], 2.0, v[8:9] op_sel_hi:[1,0,1] neg_lo:[0,0,1] neg_hi:[0,0,1]
	;; [unrolled: 1-line block ×5, first 2 shown]
	ds_write2_b64 v45, v[26:27], v[32:33] offset1:28
	ds_write2_b64 v68, v[30:31], v[28:29] offset1:28
	;; [unrolled: 1-line block ×6, first 2 shown]
	v_and_b32_e32 v7, 3, v35
	v_lshlrev_b32_e32 v8, 3, v7
	s_waitcnt lgkmcnt(0)
	s_barrier
	global_load_dwordx2 v[8:9], v8, s[14:15] offset:16
	v_and_b32_e32 v40, 3, v34
	v_lshlrev_b32_e32 v12, 3, v40
	global_load_dwordx2 v[28:29], v12, s[14:15] offset:16
	v_and_b32_e32 v41, 3, v63
	v_lshlrev_b32_e32 v12, 3, v41
	;; [unrolled: 3-line block ×4, first 2 shown]
	global_load_dwordx2 v[34:35], v12, s[14:15] offset:16
	s_movk_i32 s16, 0x7ff8
	v_and_or_b32 v51, v67, s16, v24
	v_add_u32_e32 v24, 0x5400, v4
	ds_read2_b64 v[12:15], v57 offset0:32 offset1:228
	ds_read_b64 v[36:37], v4
	ds_read_b64 v[38:39], v10
	ds_read2_b64 v[16:19], v64 offset0:40 offset1:236
	ds_read2_b64 v[20:23], v65 offset0:48 offset1:244
	v_and_or_b32 v49, v66, s16, v25
	ds_read2_b64 v[24:27], v24 offset0:56 offset1:252
	v_and_or_b32 v48, v54, 56, v41
	v_and_or_b32 v50, v44, s16, v41
	;; [unrolled: 1-line block ×6, first 2 shown]
	v_mul_u32_u24_e32 v7, 0x70, v7
	v_add3_u32 v7, 0, v7, v6
	v_and_b32_e32 v70, 7, v62
	v_and_b32_e32 v71, 7, v63
	;; [unrolled: 1-line block ×3, first 2 shown]
	s_movk_i32 s16, 0x60
	v_lshlrev_b32_e32 v1, 2, v1
	s_waitcnt vmcnt(4) lgkmcnt(0)
	v_pk_mul_f32 v[40:41], v[26:27], v[8:9] op_sel:[0,1]
	s_nop 0
	v_pk_fma_f32 v[42:43], v[26:27], v[8:9], v[40:41] op_sel:[0,0,1] op_sel_hi:[1,1,0] neg_lo:[0,0,1] neg_hi:[0,0,1]
	v_pk_fma_f32 v[8:9], v[26:27], v[8:9], v[40:41] op_sel:[0,0,1] op_sel_hi:[1,0,0]
	s_nop 0
	v_mov_b32_e32 v43, v9
	s_waitcnt vmcnt(3)
	v_pk_mul_f32 v[8:9], v[22:23], v[28:29] op_sel:[0,1]
	s_nop 0
	v_pk_fma_f32 v[26:27], v[22:23], v[28:29], v[8:9] op_sel:[0,0,1] op_sel_hi:[1,1,0] neg_lo:[0,0,1] neg_hi:[0,0,1]
	v_pk_fma_f32 v[8:9], v[22:23], v[28:29], v[8:9] op_sel:[0,0,1] op_sel_hi:[1,0,0]
	s_nop 0
	v_mov_b32_e32 v27, v9
	s_waitcnt vmcnt(2)
	v_pk_mul_f32 v[8:9], v[30:31], v[20:21] op_sel:[0,1]
	s_nop 0
	v_pk_fma_f32 v[22:23], v[30:31], v[20:21], v[8:9] op_sel:[0,0,1] op_sel_hi:[1,1,0] neg_lo:[0,0,1] neg_hi:[0,0,1]
	v_pk_fma_f32 v[8:9], v[30:31], v[20:21], v[8:9] op_sel:[0,0,1] op_sel_hi:[1,0,0]
	s_nop 0
	v_mov_b32_e32 v23, v9
	v_pk_mul_f32 v[8:9], v[24:25], v[30:31] op_sel:[0,1]
	s_nop 0
	v_pk_fma_f32 v[20:21], v[24:25], v[30:31], v[8:9] op_sel:[0,0,1] op_sel_hi:[1,1,0] neg_lo:[0,0,1] neg_hi:[0,0,1]
	v_pk_fma_f32 v[8:9], v[24:25], v[30:31], v[8:9] op_sel:[0,0,1] op_sel_hi:[1,0,0]
	s_nop 0
	v_mov_b32_e32 v21, v9
	s_waitcnt vmcnt(1)
	v_pk_mul_f32 v[8:9], v[32:33], v[18:19] op_sel:[0,1]
	s_nop 0
	v_pk_fma_f32 v[24:25], v[32:33], v[18:19], v[8:9] op_sel:[0,0,1] op_sel_hi:[1,1,0] neg_lo:[0,0,1] neg_hi:[0,0,1]
	v_pk_fma_f32 v[8:9], v[32:33], v[18:19], v[8:9] op_sel:[0,0,1] op_sel_hi:[1,0,0]
	v_pk_mul_f32 v[18:19], v[30:31], v[16:17] op_sel:[0,1]
	v_mov_b32_e32 v25, v9
	v_pk_fma_f32 v[28:29], v[30:31], v[16:17], v[18:19] op_sel:[0,0,1] op_sel_hi:[1,1,0] neg_lo:[0,0,1] neg_hi:[0,0,1]
	v_pk_fma_f32 v[16:17], v[30:31], v[16:17], v[18:19] op_sel:[0,0,1] op_sel_hi:[1,0,0]
	s_waitcnt vmcnt(0)
	v_pk_mul_f32 v[18:19], v[34:35], v[14:15] op_sel:[0,1]
	v_mov_b32_e32 v29, v17
	v_pk_fma_f32 v[32:33], v[34:35], v[14:15], v[18:19] op_sel:[0,0,1] op_sel_hi:[1,1,0] neg_lo:[0,0,1] neg_hi:[0,0,1]
	v_pk_fma_f32 v[14:15], v[34:35], v[14:15], v[18:19] op_sel:[0,0,1] op_sel_hi:[1,0,0]
	v_pk_mul_f32 v[18:19], v[30:31], v[12:13] op_sel:[0,1]
	v_mov_b32_e32 v33, v15
	v_pk_fma_f32 v[34:35], v[30:31], v[12:13], v[18:19] op_sel:[0,0,1] op_sel_hi:[1,1,0] neg_lo:[0,0,1] neg_hi:[0,0,1]
	v_pk_fma_f32 v[12:13], v[30:31], v[12:13], v[18:19] op_sel:[0,0,1] op_sel_hi:[1,0,0]
	ds_read_b64 v[18:19], v5
	ds_read_b64 v[30:31], v2
	;; [unrolled: 1-line block ×4, first 2 shown]
	v_mul_u32_u24_e32 v12, 0x70, v49
	v_mul_u32_u24_e32 v11, 0x70, v48
	v_add3_u32 v48, 0, v12, v6
	v_mul_u32_u24_e32 v12, 0x70, v50
	ds_read_b64 v[8:9], v55
	ds_read_b64 v[46:47], v56
	v_add3_u32 v49, 0, v12, v6
	v_mul_u32_u24_e32 v12, 0x70, v51
	v_add3_u32 v50, 0, v12, v6
	v_mul_u32_u24_e32 v12, 0x70, v52
	;; [unrolled: 2-line block ×4, first 2 shown]
	v_mov_b32_e32 v35, v13
	v_add3_u32 v53, 0, v12, v6
	v_pk_add_f32 v[12:13], v[36:37], v[34:35] neg_lo:[0,1] neg_hi:[0,1]
	v_add3_u32 v11, 0, v11, v6
	s_waitcnt lgkmcnt(0)
	v_pk_add_f32 v[42:43], v[46:47], v[42:43] neg_lo:[0,1] neg_hi:[0,1]
	v_pk_add_f32 v[26:27], v[44:45], v[26:27] neg_lo:[0,1] neg_hi:[0,1]
	;; [unrolled: 1-line block ×7, first 2 shown]
	v_pk_fma_f32 v[32:33], v[36:37], 2.0, v[12:13] op_sel_hi:[1,0,1] neg_lo:[0,0,1] neg_hi:[0,0,1]
	v_pk_fma_f32 v[46:47], v[46:47], 2.0, v[42:43] op_sel_hi:[1,0,1] neg_lo:[0,0,1] neg_hi:[0,0,1]
	;; [unrolled: 1-line block ×8, first 2 shown]
	s_barrier
	ds_write2_b64 v11, v[32:33], v[12:13] offset1:56
	ds_write2_b64 v48, v[18:19], v[14:15] offset1:56
	;; [unrolled: 1-line block ×8, first 2 shown]
	v_and_b32_e32 v11, 7, v59
	v_mul_u32_u24_e32 v7, 3, v11
	v_lshlrev_b32_e32 v7, 3, v7
	s_waitcnt lgkmcnt(0)
	s_barrier
	global_load_dwordx4 v[12:15], v7, s[14:15] offset:48
	v_mul_u32_u24_e32 v8, 3, v70
	v_lshlrev_b32_e32 v20, 3, v8
	global_load_dwordx4 v[16:19], v20, s[14:15] offset:48
	global_load_dwordx2 v[8:9], v7, s[14:15] offset:64
	global_load_dwordx2 v[44:45], v20, s[14:15] offset:64
	v_mul_u32_u24_e32 v7, 3, v71
	v_lshlrev_b32_e32 v7, 3, v7
	global_load_dwordx4 v[20:23], v7, s[14:15] offset:48
	v_mul_u32_u24_e32 v24, 3, v72
	v_lshlrev_b32_e32 v28, 3, v24
	global_load_dwordx4 v[24:27], v28, s[14:15] offset:48
	global_load_dwordx2 v[46:47], v28, s[14:15] offset:64
	v_add_u32_e32 v28, 0x2a00, v4
	v_add_u32_e32 v32, 0x1e00, v4
	ds_read2_b64 v[28:31], v28 offset0:28 offset1:224
	ds_read2_b64 v[32:35], v32 offset0:20 offset1:216
	ds_read_b64 v[48:49], v3
	ds_read_b64 v[2:3], v2
	global_load_dwordx2 v[56:57], v7, s[14:15] offset:64
	v_add_u32_e32 v36, 0x3600, v4
	ds_read2_b64 v[36:39], v36 offset0:36 offset1:232
	v_add_u32_e32 v40, 0x4e00, v4
	ds_read2_b64 v[40:43], v40 offset0:52 offset1:248
	v_add_u32_e32 v7, 0x4200, v4
	ds_read_b64 v[66:67], v4 offset:23520
	s_waitcnt vmcnt(7) lgkmcnt(5)
	v_pk_mul_f32 v[50:51], v[34:35], v[12:13] op_sel:[0,1]
	s_nop 0
	v_pk_fma_f32 v[52:53], v[34:35], v[12:13], v[50:51] op_sel:[0,0,1] op_sel_hi:[1,1,0] neg_lo:[0,0,1] neg_hi:[0,0,1]
	v_pk_fma_f32 v[34:35], v[34:35], v[12:13], v[50:51] op_sel:[0,0,1] op_sel_hi:[1,0,0]
	v_mov_b32_e32 v12, v15
	s_waitcnt lgkmcnt(2)
	v_pk_mul_f32 v[12:13], v[38:39], v[12:13] op_sel_hi:[1,0]
	v_mov_b32_e32 v53, v35
	v_pk_fma_f32 v[50:51], v[38:39], v[14:15], v[12:13] op_sel:[0,0,1] op_sel_hi:[1,1,0] neg_lo:[0,0,1] neg_hi:[0,0,1]
	v_pk_fma_f32 v[38:39], v[38:39], v[14:15], v[12:13] op_sel:[0,0,1] op_sel_hi:[1,0,0]
	s_waitcnt vmcnt(6)
	v_pk_mul_f32 v[12:13], v[16:17], v[32:33] op_sel:[0,1]
	s_waitcnt vmcnt(2)
	v_pk_mul_f32 v[64:65], v[28:29], v[24:25] op_sel:[1,0] op_sel_hi:[0,1]
	v_pk_fma_f32 v[54:55], v[16:17], v[32:33], v[12:13] op_sel:[0,0,1] op_sel_hi:[1,1,0] neg_lo:[0,0,1] neg_hi:[0,0,1]
	v_pk_fma_f32 v[16:17], v[16:17], v[32:33], v[12:13] op_sel:[0,0,1] op_sel_hi:[1,0,0]
	v_mov_b32_e32 v12, v19
	v_pk_mul_f32 v[12:13], v[36:37], v[12:13] op_sel_hi:[1,0]
	v_mov_b32_e32 v51, v39
	v_pk_fma_f32 v[32:33], v[36:37], v[18:19], v[12:13] op_sel:[0,0,1] op_sel_hi:[1,1,0] neg_lo:[0,0,1] neg_hi:[0,0,1]
	v_pk_fma_f32 v[18:19], v[36:37], v[18:19], v[12:13] op_sel:[0,0,1] op_sel_hi:[1,0,0]
	s_waitcnt lgkmcnt(1)
	v_pk_mul_f32 v[12:13], v[42:43], v[8:9] op_sel:[0,1]
	v_mov_b32_e32 v55, v17
	v_pk_fma_f32 v[36:37], v[42:43], v[8:9], v[12:13] op_sel:[0,0,1] op_sel_hi:[1,1,0] neg_lo:[0,0,1] neg_hi:[0,0,1]
	v_pk_fma_f32 v[8:9], v[42:43], v[8:9], v[12:13] op_sel:[0,0,1] op_sel_hi:[1,0,0]
	v_pk_mul_f32 v[12:13], v[40:41], v[44:45] op_sel:[0,1]
	v_mov_b32_e32 v8, v25
	v_pk_fma_f32 v[42:43], v[40:41], v[44:45], v[12:13] op_sel:[0,0,1] op_sel_hi:[1,1,0] neg_lo:[0,0,1] neg_hi:[0,0,1]
	v_pk_fma_f32 v[40:41], v[40:41], v[44:45], v[12:13] op_sel:[0,0,1] op_sel_hi:[1,0,0]
	;; [unrolled: 4-line block ×4, first 2 shown]
	v_pk_mul_f32 v[12:13], v[28:29], v[8:9] op_sel:[1,0] op_sel_hi:[0,1]
	v_pk_fma_f32 v[30:31], v[28:29], v[24:25], v[12:13] neg_lo:[0,0,1] neg_hi:[0,0,1]
	ds_read2_b64 v[12:15], v7 offset0:44 offset1:240
	v_mov_b32_e32 v7, v64
	v_mov_b32_e32 v8, v27
	v_pk_fma_f32 v[24:25], v[28:29], v[24:25], v[6:7] op_sel:[1,0,0] op_sel_hi:[0,1,1]
	v_mov_b32_e32 v49, v23
	s_waitcnt lgkmcnt(0)
	v_pk_mul_f32 v[64:65], v[12:13], v[26:27] op_sel:[1,0] op_sel_hi:[0,1]
	v_pk_mul_f32 v[28:29], v[12:13], v[8:9] op_sel:[1,0] op_sel_hi:[0,1]
	v_mov_b32_e32 v7, v64
	v_pk_fma_f32 v[28:29], v[12:13], v[26:27], v[28:29] neg_lo:[0,0,1] neg_hi:[0,0,1]
	v_pk_fma_f32 v[12:13], v[12:13], v[26:27], v[6:7] op_sel:[1,0,0] op_sel_hi:[0,1,1]
	v_mov_b32_e32 v29, v13
	ds_read_b64 v[12:13], v5
	ds_read_b64 v[26:27], v4
	s_waitcnt vmcnt(1)
	v_mov_b32_e32 v8, v47
	v_pk_mul_f32 v[68:69], v[66:67], v[46:47] op_sel:[1,0] op_sel_hi:[0,1]
	v_pk_mul_f32 v[64:65], v[66:67], v[8:9] op_sel:[1,0] op_sel_hi:[0,1]
	v_mov_b32_e32 v7, v68
	s_waitcnt vmcnt(0)
	v_pk_mul_f32 v[20:21], v[56:57], v[14:15] op_sel:[0,1]
	v_pk_fma_f32 v[64:65], v[66:67], v[46:47], v[64:65] neg_lo:[0,0,1] neg_hi:[0,0,1]
	v_pk_fma_f32 v[46:47], v[66:67], v[46:47], v[6:7] op_sel:[1,0,0] op_sel_hi:[0,1,1]
	v_lshlrev_b32_e32 v7, 2, v63
	v_pk_fma_f32 v[22:23], v[56:57], v[14:15], v[20:21] op_sel:[0,0,1] op_sel_hi:[1,1,0] neg_lo:[0,0,1] neg_hi:[0,0,1]
	v_pk_fma_f32 v[14:15], v[56:57], v[14:15], v[20:21] op_sel:[0,0,1] op_sel_hi:[1,0,0]
	v_and_or_b32 v7, v7, s16, v71
	v_lshlrev_b32_e32 v8, 2, v62
	s_mov_b32 s16, 0xffe0
	v_mov_b32_e32 v23, v15
	v_and_or_b32 v18, v8, s16, v70
	v_lshlrev_b32_e32 v8, 2, v59
	s_waitcnt lgkmcnt(0)
	v_pk_add_f32 v[14:15], v[26:27], v[48:49] neg_lo:[0,1] neg_hi:[0,1]
	v_pk_add_f32 v[22:23], v[44:45], v[22:23] neg_lo:[0,1] neg_hi:[0,1]
	v_and_or_b32 v11, v8, s16, v11
	ds_read_b64 v[8:9], v10
	v_pk_fma_f32 v[20:21], v[26:27], 2.0, v[14:15] op_sel_hi:[1,0,1] neg_lo:[0,0,1] neg_hi:[0,0,1]
	v_pk_fma_f32 v[26:27], v[44:45], 2.0, v[22:23] op_sel_hi:[1,0,1] neg_lo:[0,0,1] neg_hi:[0,0,1]
	v_pk_add_f32 v[38:39], v[14:15], v[22:23] op_sel:[0,1] op_sel_hi:[1,0] neg_lo:[0,1] neg_hi:[0,1]
	v_pk_add_f32 v[22:23], v[14:15], v[22:23] op_sel:[0,1] op_sel_hi:[1,0]
	v_mov_b32_e32 v31, v25
	v_mov_b32_e32 v65, v47
	v_mul_u32_u24_e32 v7, 0x70, v7
	v_mul_u32_u24_e32 v18, 0x70, v18
	v_mov_b32_e32 v33, v19
	v_mov_b32_e32 v43, v41
	v_pk_add_f32 v[26:27], v[20:21], v[26:27] neg_lo:[0,1] neg_hi:[0,1]
	v_mov_b32_e32 v39, v23
	v_pk_add_f32 v[24:25], v[30:31], v[64:65] neg_lo:[0,1] neg_hi:[0,1]
	v_add3_u32 v7, 0, v7, v6
	v_add3_u32 v40, 0, v18, v6
	v_pk_add_f32 v[18:19], v[12:13], v[32:33] neg_lo:[0,1] neg_hi:[0,1]
	v_pk_add_f32 v[32:33], v[54:55], v[42:43] neg_lo:[0,1] neg_hi:[0,1]
	v_pk_fma_f32 v[20:21], v[20:21], 2.0, v[26:27] op_sel_hi:[1,0,1] neg_lo:[0,0,1] neg_hi:[0,0,1]
	v_pk_fma_f32 v[14:15], v[14:15], 2.0, v[38:39] op_sel_hi:[1,0,1] neg_lo:[0,0,1] neg_hi:[0,0,1]
	v_pk_add_f32 v[16:17], v[2:3], v[28:29] neg_lo:[0,1] neg_hi:[0,1]
	v_pk_fma_f32 v[28:29], v[30:31], 2.0, v[24:25] op_sel_hi:[1,0,1] neg_lo:[0,0,1] neg_hi:[0,0,1]
	v_pk_add_f32 v[30:31], v[52:53], v[36:37] neg_lo:[0,1] neg_hi:[0,1]
	v_pk_fma_f32 v[12:13], v[12:13], 2.0, v[18:19] op_sel_hi:[1,0,1] neg_lo:[0,0,1] neg_hi:[0,0,1]
	v_pk_fma_f32 v[36:37], v[54:55], 2.0, v[32:33] op_sel_hi:[1,0,1] neg_lo:[0,0,1] neg_hi:[0,0,1]
	s_waitcnt lgkmcnt(0)
	s_barrier
	ds_write2_b64 v7, v[20:21], v[14:15] offset1:112
	v_pk_add_f32 v[14:15], v[18:19], v[32:33] op_sel:[0,1] op_sel_hi:[1,0] neg_lo:[0,1] neg_hi:[0,1]
	v_pk_add_f32 v[20:21], v[18:19], v[32:33] op_sel:[0,1] op_sel_hi:[1,0]
	v_pk_fma_f32 v[2:3], v[2:3], 2.0, v[16:17] op_sel_hi:[1,0,1] neg_lo:[0,0,1] neg_hi:[0,0,1]
	v_pk_add_f32 v[36:37], v[12:13], v[36:37] neg_lo:[0,1] neg_hi:[0,1]
	v_add_u32_e32 v7, 0x400, v7
	v_mov_b32_e32 v15, v21
	v_pk_add_f32 v[64:65], v[2:3], v[28:29] neg_lo:[0,1] neg_hi:[0,1]
	v_pk_add_f32 v[28:29], v[8:9], v[50:51] neg_lo:[0,1] neg_hi:[0,1]
	v_pk_fma_f32 v[12:13], v[12:13], 2.0, v[36:37] op_sel_hi:[1,0,1] neg_lo:[0,0,1] neg_hi:[0,0,1]
	ds_write2_b64 v7, v[26:27], v[38:39] offset0:96 offset1:208
	v_pk_fma_f32 v[18:19], v[18:19], 2.0, v[14:15] op_sel_hi:[1,0,1] neg_lo:[0,0,1] neg_hi:[0,0,1]
	v_add_u32_e32 v7, 0x400, v40
	v_mul_u32_u24_e32 v11, 0x70, v11
	v_pk_fma_f32 v[8:9], v[8:9], 2.0, v[28:29] op_sel_hi:[1,0,1] neg_lo:[0,0,1] neg_hi:[0,0,1]
	v_pk_fma_f32 v[34:35], v[52:53], 2.0, v[30:31] op_sel_hi:[1,0,1] neg_lo:[0,0,1] neg_hi:[0,0,1]
	ds_write2_b64 v40, v[12:13], v[18:19] offset1:112
	ds_write2_b64 v7, v[36:37], v[14:15] offset0:96 offset1:208
	v_pk_add_f32 v[12:13], v[28:29], v[30:31] op_sel:[0,1] op_sel_hi:[1,0] neg_lo:[0,1] neg_hi:[0,1]
	v_pk_add_f32 v[14:15], v[28:29], v[30:31] op_sel:[0,1] op_sel_hi:[1,0]
	v_add3_u32 v11, 0, v11, v6
	v_pk_add_f32 v[34:35], v[8:9], v[34:35] neg_lo:[0,1] neg_hi:[0,1]
	v_mov_b32_e32 v13, v15
	v_and_or_b32 v1, v1, s16, v72
	v_pk_fma_f32 v[8:9], v[8:9], 2.0, v[34:35] op_sel_hi:[1,0,1] neg_lo:[0,0,1] neg_hi:[0,0,1]
	v_pk_fma_f32 v[14:15], v[28:29], 2.0, v[12:13] op_sel_hi:[1,0,1] neg_lo:[0,0,1] neg_hi:[0,0,1]
	v_add_u32_e32 v7, 0x400, v11
	v_mul_u32_u24_e32 v1, 0x70, v1
	ds_write2_b64 v11, v[8:9], v[14:15] offset1:112
	ds_write2_b64 v7, v[34:35], v[12:13] offset0:96 offset1:208
	v_add3_u32 v1, 0, v1, v6
	v_pk_fma_f32 v[6:7], v[2:3], 2.0, v[64:65] op_sel_hi:[1,0,1] neg_lo:[0,0,1] neg_hi:[0,0,1]
	v_pk_add_f32 v[8:9], v[16:17], v[24:25] op_sel:[0,1] op_sel_hi:[1,0] neg_lo:[0,1] neg_hi:[0,1]
	v_pk_add_f32 v[2:3], v[16:17], v[24:25] op_sel:[0,1] op_sel_hi:[1,0]
                                        ; implicit-def: $vgpr66_vgpr67
                                        ; implicit-def: $vgpr68_vgpr69
	s_nop 0
	v_mov_b32_e32 v2, v8
	v_pk_fma_f32 v[8:9], v[16:17], 2.0, v[2:3] op_sel_hi:[1,0,1] neg_lo:[0,0,1] neg_hi:[0,0,1]
	ds_write2_b64 v1, v[6:7], v[8:9] offset1:112
	v_add_u32_e32 v1, 0x400, v1
	ds_write2_b64 v1, v[64:65], v[2:3] offset0:96 offset1:208
	v_add_u32_e32 v1, 0x1420, v4
	s_waitcnt lgkmcnt(0)
	s_barrier
	ds_read2_b64 v[34:37], v1 offset1:252
	v_add_u32_e32 v1, 0x2220, v4
	ds_read2_b64 v[30:33], v1 offset1:252
	v_add_u32_e32 v1, 0x3020, v4
	;; [unrolled: 2-line block ×4, first 2 shown]
	ds_read2st64_b64 v[14:17], v4 offset1:7
	ds_read2_b64 v[22:25], v1 offset1:252
	ds_read_b64 v[70:71], v5
	ds_read_b64 v[72:73], v4 offset:23072
	s_and_saveexec_b64 s[16:17], vcc
	s_xor_b64 s[16:17], exec, s[16:17]
; %bb.15:
	v_mov_b32_e32 v66, v3
	v_mov_b64_e32 v[68:69], v[2:3]
                                        ; implicit-def: $vgpr10
                                        ; implicit-def: $vgpr4
; %bb.16:
	s_or_saveexec_b64 s[16:17], s[16:17]
                                        ; implicit-def: $vgpr6
                                        ; implicit-def: $vgpr12
	s_xor_b64 exec, exec, s[16:17]
	s_cbranch_execz .LBB0_18
; %bb.17:
	v_add_u32_e32 v1, 64, v4
	ds_read2st64_b64 v[2:5], v1 offset0:13 offset1:20
	ds_read2st64_b64 v[6:9], v1 offset0:27 offset1:34
	ds_read_b64 v[64:65], v10
	ds_read2st64_b64 v[10:13], v1 offset0:41 offset1:48
	s_waitcnt lgkmcnt(3)
	v_mov_b32_e32 v68, v2
	s_waitcnt lgkmcnt(2)
	v_mov_b32_e32 v69, v7
	v_mov_b32_e32 v66, v3
.LBB0_18:
	s_or_b64 exec, exec, s[16:17]
	v_mul_u32_u24_e32 v1, 6, v63
	v_lshlrev_b32_e32 v1, 3, v1
	v_and_b32_e32 v84, 31, v62
	global_load_dwordx4 v[42:45], v1, s[14:15] offset:240
	global_load_dwordx4 v[38:41], v1, s[14:15] offset:272
	;; [unrolled: 1-line block ×3, first 2 shown]
	v_mul_u32_u24_e32 v1, 6, v84
	s_load_dwordx2 s[16:17], s[0:1], 0x8
	v_lshlrev_b32_e32 v77, 3, v1
	global_load_dwordx4 v[54:57], v77, s[14:15] offset:240
	global_load_dwordx4 v[46:49], v77, s[14:15] offset:256
	v_mul_lo_u32 v102, v60, v63
	v_mov_b32_e32 v1, 3
	v_lshlrev_b32_sdwa v7, v1, v102 dst_sel:DWORD dst_unused:UNUSED_PAD src0_sel:DWORD src1_sel:BYTE_0
	v_lshlrev_b32_sdwa v67, v1, v102 dst_sel:DWORD dst_unused:UNUSED_PAD src0_sel:DWORD src1_sel:BYTE_1
	s_waitcnt lgkmcnt(0)
	global_load_dwordx2 v[74:75], v7, s[16:17]
	global_load_dwordx2 v[82:83], v67, s[16:17] offset:2048
	v_or_b32_e32 v7, 32, v63
	v_mul_lo_u32 v103, v60, v7
	v_mov_b32_e32 v78, v37
	v_mov_b32_e32 v79, v21
	;; [unrolled: 1-line block ×6, first 2 shown]
	v_lshlrev_b32_sdwa v67, v1, v103 dst_sel:DWORD dst_unused:UNUSED_PAD src0_sel:DWORD src1_sel:BYTE_0
	v_lshlrev_b32_sdwa v76, v1, v103 dst_sel:DWORD dst_unused:UNUSED_PAD src0_sel:DWORD src1_sel:BYTE_1
	v_mov_b32_e32 v80, v36
	v_mov_b32_e32 v81, v20
	global_load_dwordx2 v[86:87], v67, s[16:17]
	global_load_dwordx2 v[88:89], v76, s[16:17] offset:2048
	v_or_b32_e32 v67, 64, v63
	v_mov_b32_e32 v35, v27
	v_or_b32_e32 v108, 0x80, v63
	v_mov_b32_e32 v36, v33
	v_mul_lo_u32 v104, v60, v67
	v_mul_lo_u32 v105, v60, v108
	s_mov_b32 s20, 0x3eae86e6
	s_mov_b32 s24, 0x3f955555
	;; [unrolled: 1-line block ×12, first 2 shown]
	v_or_b32_e32 v111, 0x60, v63
	s_andn2_b64 vcc, exec, s[2:3]
	s_waitcnt vmcnt(8)
	v_mov_b32_e32 v94, v45
	s_waitcnt vmcnt(7)
	v_mov_b32_e32 v95, v39
	v_mov_b32_e32 v98, v45
	s_waitcnt vmcnt(6)
	v_mov_b32_e32 v99, v50
	v_mov_b32_e32 v96, v44
	;; [unrolled: 1-line block ×3, first 2 shown]
	v_pk_mul_f32 v[78:79], v[94:95], v[78:79]
	v_pk_mul_f32 v[90:91], v[98:99], v[90:91]
	s_waitcnt vmcnt(5)
	v_mov_b32_e32 v98, v54
	s_waitcnt vmcnt(4)
	v_mov_b32_e32 v99, v46
	v_mov_b32_e32 v101, v46
	;; [unrolled: 1-line block ×3, first 2 shown]
	v_pk_mul_f32 v[54:55], v[54:55], v[92:93]
	v_mov_b32_e32 v93, v26
	v_mul_f32_e32 v76, v43, v16
	v_pk_fma_f32 v[78:79], v[96:97], v[80:81], v[78:79] neg_lo:[0,0,1] neg_hi:[0,0,1]
	v_pk_mul_f32 v[80:81], v[46:47], v[92:93]
	v_mov_b32_e32 v45, v44
	v_mov_b32_e32 v94, v42
	;; [unrolled: 1-line block ×4, first 2 shown]
	v_fmac_f32_e32 v76, v42, v17
	v_pk_fma_f32 v[42:43], v[98:99], v[34:35], v[80:81] neg_lo:[0,0,1] neg_hi:[0,0,1]
	v_pk_fma_f32 v[34:35], v[98:99], v[34:35], v[80:81]
	v_mov_b32_e32 v44, v51
	v_lshlrev_b32_sdwa v34, v1, v104 dst_sel:DWORD dst_unused:UNUSED_PAD src0_sel:DWORD src1_sel:BYTE_0
	v_pk_fma_f32 v[80:81], v[44:45], v[36:37], v[90:91] op_sel:[0,0,1] op_sel_hi:[1,1,0]
	s_waitcnt vmcnt(2)
	v_mul_f32_e32 v36, v75, v83
	v_lshlrev_b32_sdwa v43, v1, v104 dst_sel:DWORD dst_unused:UNUSED_PAD src0_sel:DWORD src1_sel:BYTE_1
	v_lshlrev_b32_sdwa v46, v1, v105 dst_sel:DWORD dst_unused:UNUSED_PAD src0_sel:DWORD src1_sel:BYTE_0
	v_mul_f32_e32 v96, v74, v83
	v_fma_f32 v97, v74, v82, -v36
	global_load_dwordx2 v[36:37], v34, s[16:17]
	global_load_dwordx2 v[44:45], v43, s[16:17] offset:2048
	v_lshlrev_b32_sdwa v80, v1, v105 dst_sel:DWORD dst_unused:UNUSED_PAD src0_sel:DWORD src1_sel:BYTE_1
	v_fmac_f32_e32 v96, v75, v82
	global_load_dwordx2 v[74:75], v46, s[16:17]
	global_load_dwordx2 v[82:83], v80, s[16:17] offset:2048
	s_waitcnt vmcnt(4)
	v_mul_f32_e32 v34, v87, v89
	v_fma_f32 v99, v86, v88, -v34
	v_mov_b32_e32 v100, v57
	v_mov_b32_e32 v46, v29
	v_mul_f32_e32 v98, v86, v89
	v_mul_lo_u32 v86, v60, v84
	v_fmac_f32_e32 v98, v87, v88
	s_waitcnt vmcnt(2)
	v_mul_f32_e32 v34, v37, v45
	v_mul_f32_e32 v106, v36, v45
	v_fma_f32 v107, v36, v44, -v34
	v_fmac_f32_e32 v106, v37, v44
	s_waitcnt vmcnt(0)
	v_mul_f32_e32 v34, v75, v83
	v_mul_f32_e32 v109, v74, v83
	v_mov_b32_e32 v36, v30
	v_mov_b32_e32 v37, v26
	v_fma_f32 v110, v74, v82, -v34
	v_fmac_f32_e32 v109, v75, v82
	v_pk_mul_f32 v[44:45], v[36:37], v[100:101]
	v_pk_mul_f32 v[74:75], v[56:57], v[30:31]
	v_mov_b32_e32 v30, v27
	v_mov_b32_e32 v26, v47
	v_mov_b32_e32 v34, v51
	v_pk_fma_f32 v[36:37], v[30:31], v[26:27], v[44:45] op_sel:[0,0,1] op_sel_hi:[1,1,0] neg_lo:[1,0,0] neg_hi:[1,0,0]
	v_mov_b32_e32 v27, v32
	v_mov_b32_e32 v26, v17
	v_pk_fma_f32 v[82:83], v[34:35], v[32:33], v[90:91] op_sel:[0,1,1] op_sel_hi:[1,1,0] neg_lo:[1,0,0] neg_hi:[1,0,0]
	v_mov_b32_e32 v57, v56
	v_mov_b32_e32 v56, v47
	v_mov_b32_e32 v32, v16
	v_pk_mul_f32 v[16:17], v[50:51], v[26:27]
	v_pk_fma_f32 v[44:45], v[30:31], v[56:57], v[44:45] op_sel:[0,0,1] op_sel_hi:[1,1,0]
	v_pk_fma_f32 v[30:31], v[94:95], v[32:33], v[16:17] neg_lo:[0,0,1] neg_hi:[0,0,1]
	v_pk_fma_f32 v[26:27], v[94:95], v[32:33], v[16:17]
	v_mov_b32_e32 v17, v38
	v_mov_b32_e32 v38, v53
	v_mov_b32_e32 v47, v20
	v_mov_b32_e32 v16, v52
	v_mov_b32_e32 v32, v28
	v_mov_b32_e32 v33, v21
	v_pk_mul_f32 v[20:21], v[38:39], v[46:47]
	v_lshlrev_b32_sdwa v26, v1, v86 dst_sel:DWORD dst_unused:UNUSED_PAD src0_sel:DWORD src1_sel:BYTE_0
	v_pk_fma_f32 v[38:39], v[16:17], v[32:33], v[20:21]
	v_mov_b32_e32 v16, v25
	v_mov_b32_e32 v17, v28
	v_pk_fma_f32 v[32:33], v[52:53], v[28:29], v[20:21] op_sel_hi:[1,0,1] neg_lo:[0,0,1] neg_hi:[0,0,1]
	v_mov_b32_e32 v21, v52
	v_mov_b32_e32 v52, v41
	v_pk_mul_f32 v[16:17], v[52:53], v[16:17]
	v_mov_b32_e32 v28, v24
	v_mov_b32_e32 v20, v40
	v_pk_fma_f32 v[46:47], v[20:21], v[28:29], v[16:17] neg_lo:[0,0,1] neg_hi:[0,0,1]
	v_pk_fma_f32 v[28:29], v[20:21], v[28:29], v[16:17]
	v_mul_f32_e32 v24, v41, v24
	v_lshlrev_b32_sdwa v28, v1, v86 dst_sel:DWORD dst_unused:UNUSED_PAD src0_sel:DWORD src1_sel:BYTE_1
	global_load_dwordx2 v[16:17], v26, s[16:17]
	global_load_dwordx2 v[20:21], v28, s[16:17] offset:2048
	v_fmac_f32_e32 v24, v40, v25
	v_mov_b32_e32 v28, v79
	v_mov_b32_e32 v31, v27
	;; [unrolled: 1-line block ×5, first 2 shown]
	s_waitcnt vmcnt(0)
	v_mul_f32_e32 v25, v17, v21
	v_fma_f32 v56, v16, v20, -v25
	v_mul_f32_e32 v57, v16, v21
	v_or_b32_e32 v16, 32, v84
	v_mul_lo_u32 v87, v60, v16
	v_lshlrev_b32_sdwa v25, v1, v87 dst_sel:DWORD dst_unused:UNUSED_PAD src0_sel:DWORD src1_sel:BYTE_0
	v_fmac_f32_e32 v57, v17, v20
	v_lshlrev_b32_sdwa v26, v1, v87 dst_sel:DWORD dst_unused:UNUSED_PAD src0_sel:DWORD src1_sel:BYTE_1
	global_load_dwordx2 v[16:17], v25, s[16:17]
	global_load_dwordx2 v[20:21], v26, s[16:17] offset:2048
	s_waitcnt vmcnt(0)
	v_mul_f32_e32 v25, v17, v21
	v_fma_f32 v43, v16, v20, -v25
	v_mul_f32_e32 v44, v16, v21
	v_or_b32_e32 v16, 64, v84
	v_mul_lo_u32 v88, v60, v16
	v_fmac_f32_e32 v44, v17, v20
	v_lshlrev_b32_sdwa v16, v1, v88 dst_sel:DWORD dst_unused:UNUSED_PAD src0_sel:DWORD src1_sel:BYTE_0
	v_lshlrev_b32_sdwa v20, v1, v88 dst_sel:DWORD dst_unused:UNUSED_PAD src0_sel:DWORD src1_sel:BYTE_1
	global_load_dwordx2 v[16:17], v16, s[16:17]
	s_nop 0
	global_load_dwordx2 v[20:21], v20, s[16:17] offset:2048
	s_waitcnt vmcnt(0)
	v_mul_f32_e32 v25, v17, v21
	v_fma_f32 v34, v16, v20, -v25
	v_mul_f32_e32 v37, v16, v21
	v_or_b32_e32 v16, 0x80, v84
	v_mul_lo_u32 v89, v60, v16
	v_lshlrev_b32_sdwa v25, v1, v89 dst_sel:DWORD dst_unused:UNUSED_PAD src0_sel:DWORD src1_sel:BYTE_0
	v_fmac_f32_e32 v37, v17, v20
	v_lshlrev_b32_sdwa v26, v1, v89 dst_sel:DWORD dst_unused:UNUSED_PAD src0_sel:DWORD src1_sel:BYTE_1
	global_load_dwordx2 v[16:17], v25, s[16:17]
	global_load_dwordx2 v[20:21], v26, s[16:17] offset:2048
	global_load_dwordx4 v[90:93], v77, s[14:15] offset:272
	v_mov_b32_e32 v77, v30
	s_waitcnt vmcnt(1)
	v_mul_f32_e32 v25, v17, v21
	v_mul_f32_e32 v85, v16, v21
	v_fma_f32 v80, v16, v20, -v25
	v_fmac_f32_e32 v85, v17, v20
	s_waitcnt vmcnt(0)
	v_pk_mul_f32 v[50:51], v[22:23], v[90:91]
	v_mov_b32_e32 v17, v23
	v_mov_b32_e32 v21, v22
	;; [unrolled: 1-line block ×7, first 2 shown]
	v_pk_mul_f32 v[40:41], v[20:21], v[90:91]
	s_nop 0
	v_pk_fma_f32 v[20:21], v[16:17], v[22:23], v[40:41]
	v_pk_fma_f32 v[16:17], v[16:17], v[48:49], v[40:41] neg_lo:[0,0,1] neg_hi:[0,0,1]
	v_mov_b32_e32 v22, v73
	v_mov_b32_e32 v23, v18
	;; [unrolled: 1-line block ×4, first 2 shown]
	v_bfe_u32 v17, v102, 16, 8
	v_mov_b32_e32 v20, 0x1000
	v_pk_mul_f32 v[52:53], v[22:23], v[48:49]
	v_mov_b32_e32 v40, v92
	v_pk_mul_f32 v[48:49], v[72:73], v[92:93] op_sel:[1,0] op_sel_hi:[0,1]
	v_mov_b32_e32 v73, v19
	v_lshl_or_b32 v17, v17, 3, v20
	v_pk_fma_f32 v[22:23], v[72:73], v[40:41], v[52:53] neg_lo:[0,0,1] neg_hi:[0,0,1]
	v_pk_fma_f32 v[18:19], v[72:73], v[40:41], v[52:53]
	global_load_dwordx2 v[40:41], v17, s[16:17]
	v_bfe_u32 v18, v103, 16, 8
	v_lshl_or_b32 v18, v18, 3, v20
	v_add_f32_e32 v73, v76, v24
	s_waitcnt vmcnt(0)
	v_mul_f32_e32 v17, v96, v41
	v_mul_f32_e32 v23, v97, v41
	v_fma_f32 v17, v40, v97, -v17
	v_fmac_f32_e32 v23, v40, v96
	global_load_dwordx2 v[40:41], v18, s[16:17]
	s_waitcnt vmcnt(0)
	v_mul_f32_e32 v18, v98, v41
	v_fma_f32 v100, v40, v99, -v18
	v_bfe_u32 v18, v104, 16, 8
	v_mul_f32_e32 v101, v99, v41
	v_lshl_or_b32 v18, v18, 3, v20
	v_fmac_f32_e32 v101, v40, v98
	global_load_dwordx2 v[40:41], v18, s[16:17]
	s_waitcnt vmcnt(0)
	v_mul_f32_e32 v18, v106, v41
	v_fma_f32 v102, v40, v107, -v18
	v_bfe_u32 v18, v105, 16, 8
	v_mul_f32_e32 v103, v107, v41
	v_lshl_or_b32 v18, v18, 3, v20
	v_fmac_f32_e32 v103, v40, v106
	global_load_dwordx2 v[40:41], v18, s[16:17]
	s_waitcnt vmcnt(0)
	v_mul_f32_e32 v105, v110, v41
	v_mul_f32_e32 v18, v109, v41
	v_fmac_f32_e32 v105, v40, v109
	v_or_b32_e32 v109, 0xc0, v63
	v_fma_f32 v104, v40, v110, -v18
	v_mul_lo_u32 v18, v60, v109
	v_lshlrev_b32_sdwa v25, v1, v18 dst_sel:DWORD dst_unused:UNUSED_PAD src0_sel:DWORD src1_sel:BYTE_0
	v_lshlrev_b32_sdwa v26, v1, v18 dst_sel:DWORD dst_unused:UNUSED_PAD src0_sel:DWORD src1_sel:BYTE_1
	global_load_dwordx2 v[40:41], v25, s[16:17]
	global_load_dwordx2 v[52:53], v26, s[16:17] offset:2048
	v_bfe_u32 v18, v18, 16, 8
	v_lshl_or_b32 v18, v18, 3, v20
	v_or_b32_e32 v110, 0xa0, v63
	s_waitcnt vmcnt(0)
	v_mul_f32_e32 v25, v40, v52
	v_fma_f32 v25, -v41, v53, v25
	v_pk_mul_f32 v[40:41], v[40:41], v[52:53] op_sel:[1,0] op_sel_hi:[0,1]
	v_add_f32_e32 v26, v40, v41
	global_load_dwordx2 v[40:41], v18, s[16:17]
	s_waitcnt vmcnt(0)
	v_mul_f32_e32 v18, v25, v41
	v_fmac_f32_e32 v18, v40, v26
	v_mul_f32_e32 v26, v26, v41
	v_fma_f32 v26, v40, v25, -v26
	v_mov_b32_e32 v25, v46
	v_pk_add_f32 v[24:25], v[76:77], v[24:25] neg_lo:[0,1] neg_hi:[0,1]
	v_pk_add_f32 v[76:77], v[78:79], v[28:29]
	v_mov_b32_e32 v40, v81
	v_mov_b32_e32 v41, v78
	;; [unrolled: 1-line block ×3, first 2 shown]
	v_pk_add_f32 v[38:39], v[40:41], v[78:79] neg_lo:[0,1] neg_hi:[0,1]
	v_pk_add_f32 v[78:79], v[30:31], v[46:47]
	v_mov_b32_e32 v28, v29
	v_mov_b32_e32 v29, v32
	;; [unrolled: 1-line block ×4, first 2 shown]
	v_pk_add_f32 v[28:29], v[28:29], v[30:31] neg_lo:[0,1] neg_hi:[0,1]
	v_mov_b32_e32 v31, v25
	v_mov_b32_e32 v30, v28
	;; [unrolled: 1-line block ×4, first 2 shown]
	v_pk_add_f32 v[30:31], v[30:31], v[40:41] neg_lo:[0,1] neg_hi:[0,1]
	v_mov_b32_e32 v40, v24
	v_pk_add_f32 v[46:47], v[28:29], v[38:39]
	v_mov_b32_e32 v29, v39
	v_pk_add_f32 v[32:33], v[82:83], v[32:33]
	v_pk_add_f32 v[82:83], v[40:41], v[28:29] neg_lo:[0,1] neg_hi:[0,1]
	v_pk_add_f32 v[28:29], v[76:77], v[78:79]
	v_add_f32_e32 v41, v33, v73
	v_mov_b32_e32 v29, v79
	v_mov_b32_e32 v40, v32
	v_pk_add_f32 v[40:41], v[28:29], v[40:41]
	v_mov_b32_e32 v72, v32
	v_pk_add_f32 v[14:15], v[40:41], v[14:15]
	v_mov_b32_e32 v77, v79
	v_mul_f32_e32 v27, v15, v23
	v_mul_f32_e32 v29, v14, v23
	v_fma_f32 v28, v14, v17, -v27
	v_fmac_f32_e32 v29, v15, v17
	v_pk_fma_f32 v[40:41], v[40:41], s[24:25], v[14:15] op_sel_hi:[1,0,1] neg_lo:[1,0,0] neg_hi:[1,0,0]
	v_pk_add_f32 v[14:15], v[72:73], v[76:77] neg_lo:[0,1] neg_hi:[0,1]
	v_pk_mul_f32 v[52:53], v[30:31], s[26:27]
	v_pk_mul_f32 v[90:91], v[14:15], s[22:23]
	v_pk_add_f32 v[92:93], v[78:79], v[32:33] neg_lo:[0,1] neg_hi:[0,1]
	v_pk_add_f32 v[46:47], v[46:47], v[24:25]
	v_pk_fma_f32 v[14:15], v[92:93], s[0:1], v[90:91]
	v_pk_fma_f32 v[30:31], v[82:83], s[20:21], v[52:53]
	v_pk_add_f32 v[14:15], v[14:15], v[40:41]
	v_pk_fma_f32 v[30:31], v[46:47], s[18:19], v[30:31] op_sel_hi:[1,0,1]
	v_mov_b32_e32 v77, v33
	v_pk_add_f32 v[94:95], v[30:31], v[14:15]
	v_pk_add_f32 v[96:97], v[14:15], v[30:31] neg_lo:[0,1] neg_hi:[0,1]
	v_mov_b32_e32 v14, v95
	v_mov_b32_e32 v15, v96
	v_pk_mul_f32 v[98:99], v[14:15], v[18:19] op_sel_hi:[1,0]
	v_mul_f32_e32 v14, v97, v101
	v_fma_f32 v30, v94, v100, -v14
	v_mul_f32_e32 v31, v94, v101
	v_mov_b32_e32 v94, v96
	v_pk_fma_f32 v[14:15], v[94:95], v[26:27], v[98:99] op_sel_hi:[1,0,1]
	v_pk_fma_f32 v[26:27], v[96:97], v[26:27], v[98:99] neg_lo:[0,0,1] neg_hi:[0,0,1]
	v_mul_lo_u32 v14, v60, v110
	v_lshlrev_b32_sdwa v17, v1, v14 dst_sel:DWORD dst_unused:UNUSED_PAD src0_sel:DWORD src1_sel:BYTE_0
	global_load_dwordx2 v[94:95], v17, s[16:17]
	v_lshlrev_b32_sdwa v17, v1, v14 dst_sel:DWORD dst_unused:UNUSED_PAD src0_sel:DWORD src1_sel:BYTE_1
	v_fmac_f32_e32 v31, v97, v100
	global_load_dwordx2 v[96:97], v17, s[16:17] offset:2048
	v_bfe_u32 v14, v14, 16, 8
	v_lshl_or_b32 v14, v14, 3, v20
	v_mov_b32_e32 v79, v73
	v_pk_add_f32 v[72:73], v[76:77], v[78:79] neg_lo:[0,1] neg_hi:[0,1]
	v_pk_mul_f32 v[78:79], v[92:93], s[0:1]
	v_pk_mul_f32 v[82:83], v[82:83], s[20:21]
	v_pk_add_f32 v[76:77], v[38:39], v[24:25] neg_lo:[0,1] neg_hi:[0,1]
	v_mov_b32_e32 v24, v78
	v_mov_b32_e32 v25, v91
	;; [unrolled: 1-line block ×4, first 2 shown]
	v_pk_fma_f32 v[24:25], v[72:73], s[30:31], v[24:25] op_sel_hi:[1,0,1] neg_lo:[1,0,1] neg_hi:[1,0,1]
	v_pk_fma_f32 v[32:33], v[76:77], s[28:29], v[32:33] op_sel_hi:[1,0,1] neg_lo:[1,0,1] neg_hi:[1,0,1]
	v_pk_add_f32 v[24:25], v[24:25], v[40:41]
	v_pk_fma_f32 v[32:33], v[46:47], s[18:19], v[32:33] op_sel_hi:[1,0,1]
	v_mov_b32_e32 v91, v79
	v_pk_add_f32 v[92:93], v[32:33], v[24:25]
	v_mov_b32_e32 v53, v83
	v_mul_f32_e32 v39, v92, v103
	v_pk_fma_f32 v[72:73], v[72:73], s[30:31], v[90:91] op_sel_hi:[1,0,1] neg_lo:[0,0,1] neg_hi:[0,0,1]
	v_pk_fma_f32 v[52:53], v[76:77], s[28:29], v[52:53] op_sel_hi:[1,0,1] neg_lo:[0,0,1] neg_hi:[0,0,1]
	v_pk_add_f32 v[40:41], v[72:73], v[40:41]
	v_pk_fma_f32 v[46:47], v[46:47], s[18:19], v[52:53] op_sel_hi:[1,0,1]
	s_waitcnt vmcnt(0)
	v_mul_f32_e32 v17, v94, v96
	v_fma_f32 v17, -v95, v97, v17
	v_pk_mul_f32 v[94:95], v[94:95], v[96:97] op_sel:[1,0] op_sel_hi:[0,1]
	v_add_f32_e32 v18, v94, v95
	global_load_dwordx2 v[94:95], v14, s[16:17]
	v_pk_add_f32 v[72:73], v[40:41], v[46:47] neg_lo:[0,1] neg_hi:[0,1]
	v_pk_add_f32 v[46:47], v[40:41], v[46:47]
	v_mov_b32_e32 v41, v72
	v_mov_b32_e32 v40, v47
	s_waitcnt vmcnt(0)
	v_mul_f32_e32 v14, v17, v95
	v_fmac_f32_e32 v14, v94, v18
	v_mul_f32_e32 v18, v18, v95
	v_fma_f32 v18, v94, v17, -v18
	v_pk_add_f32 v[94:95], v[24:25], v[32:33] neg_lo:[0,1] neg_hi:[0,1]
	v_mov_b32_e32 v24, v93
	v_mov_b32_e32 v25, v94
	v_pk_mul_f32 v[32:33], v[24:25], v[14:15] op_sel_hi:[1,0]
	v_mul_f32_e32 v14, v95, v103
	v_fma_f32 v38, v92, v102, -v14
	v_mul_lo_u32 v14, v60, v111
	v_mov_b32_e32 v92, v94
	v_lshlrev_b32_sdwa v17, v1, v14 dst_sel:DWORD dst_unused:UNUSED_PAD src0_sel:DWORD src1_sel:BYTE_0
	v_pk_fma_f32 v[24:25], v[92:93], v[18:19], v[32:33] op_sel_hi:[1,0,1]
	v_pk_fma_f32 v[32:33], v[94:95], v[18:19], v[32:33] neg_lo:[0,0,1] neg_hi:[0,0,1]
	v_fmac_f32_e32 v39, v95, v102
	v_lshlrev_b32_sdwa v18, v1, v14 dst_sel:DWORD dst_unused:UNUSED_PAD src0_sel:DWORD src1_sel:BYTE_1
	global_load_dwordx2 v[92:93], v17, s[16:17]
	global_load_dwordx2 v[94:95], v18, s[16:17] offset:2048
	v_bfe_u32 v14, v14, 16, 8
	v_lshl_or_b32 v14, v14, 3, v20
	s_waitcnt vmcnt(0)
	v_mul_f32_e32 v17, v92, v94
	v_fma_f32 v17, -v93, v95, v17
	v_pk_mul_f32 v[92:93], v[92:93], v[94:95] op_sel:[1,0] op_sel_hi:[0,1]
	v_add_f32_e32 v18, v92, v93
	global_load_dwordx2 v[92:93], v14, s[16:17]
	s_waitcnt vmcnt(0)
	v_mul_f32_e32 v14, v17, v93
	v_fmac_f32_e32 v14, v92, v18
	v_mul_f32_e32 v18, v18, v93
	v_fma_f32 v18, v92, v17, -v18
	v_bfe_u32 v17, v86, 16, 8
	v_lshl_or_b32 v17, v17, 3, v20
	global_load_dwordx2 v[78:79], v17, s[16:17]
	v_bfe_u32 v17, v87, 16, 8
	v_lshl_or_b32 v17, v17, 3, v20
	global_load_dwordx2 v[76:77], v17, s[16:17]
	;; [unrolled: 3-line block ×3, first 2 shown]
	v_bfe_u32 v17, v89, 16, 8
	v_lshl_or_b32 v17, v17, 3, v20
	v_pk_mul_f32 v[82:83], v[40:41], v[14:15] op_sel_hi:[1,0]
	v_mul_f32_e32 v14, v73, v105
	global_load_dwordx2 v[88:89], v17, s[16:17]
	v_fma_f32 v40, v46, v104, -v14
	v_or_b32_e32 v14, 0xa0, v84
	v_mul_lo_u32 v14, v60, v14
	v_mul_f32_e32 v41, v46, v105
	v_mov_b32_e32 v46, v72
	v_lshlrev_b32_sdwa v17, v1, v14 dst_sel:DWORD dst_unused:UNUSED_PAD src0_sel:DWORD src1_sel:BYTE_0
	v_pk_fma_f32 v[52:53], v[46:47], v[18:19], v[82:83] op_sel_hi:[1,0,1]
	v_pk_fma_f32 v[46:47], v[72:73], v[18:19], v[82:83] neg_lo:[0,0,1] neg_hi:[0,0,1]
	v_lshlrev_b32_sdwa v18, v1, v14 dst_sel:DWORD dst_unused:UNUSED_PAD src0_sel:DWORD src1_sel:BYTE_1
	global_load_dwordx2 v[90:91], v17, s[16:17]
	global_load_dwordx2 v[92:93], v18, s[16:17] offset:2048
	v_bfe_u32 v14, v14, 16, 8
	v_lshl_or_b32 v14, v14, 3, v20
	global_load_dwordx2 v[94:95], v14, s[16:17]
	v_fmac_f32_e32 v41, v73, v104
	s_waitcnt vmcnt(6)
	v_mul_f32_e32 v14, v57, v79
	v_fma_f32 v27, v78, v56, -v14
	v_or_b32_e32 v14, 0x60, v84
	v_mul_lo_u32 v23, v60, v14
	s_waitcnt vmcnt(5)
	v_mul_f32_e32 v17, v44, v77
	v_mul_f32_e32 v33, v56, v79
	v_lshlrev_b32_sdwa v14, v1, v23 dst_sel:DWORD dst_unused:UNUSED_PAD src0_sel:DWORD src1_sel:BYTE_0
	v_fma_f32 v24, v76, v43, -v17
	v_lshlrev_b32_sdwa v17, v1, v23 dst_sel:DWORD dst_unused:UNUSED_PAD src0_sel:DWORD src1_sel:BYTE_1
	v_fmac_f32_e32 v33, v78, v57
	global_load_dwordx2 v[56:57], v14, s[16:17]
	global_load_dwordx2 v[72:73], v17, s[16:17] offset:2048
	s_waitcnt vmcnt(6)
	v_mul_f32_e32 v14, v37, v87
	v_mul_f32_e32 v52, v43, v77
	v_fma_f32 v81, v86, v34, -v14
	s_waitcnt vmcnt(5)
	v_mul_f32_e32 v14, v85, v89
	v_fmac_f32_e32 v52, v76, v44
	v_fma_f32 v44, v88, v80, -v14
	v_or_b32_e32 v14, 0xc0, v84
	v_mul_f32_e32 v47, v80, v89
	v_mov_b32_e32 v76, v54
	v_mov_b32_e32 v77, v48
	;; [unrolled: 1-line block ×3, first 2 shown]
	v_mul_lo_u32 v80, v60, v14
	v_bfe_u32 v23, v23, 16, 8
	v_pk_add_f32 v[54:55], v[76:77], v[48:49]
	v_lshlrev_b32_sdwa v14, v1, v80 dst_sel:DWORD dst_unused:UNUSED_PAD src0_sel:DWORD src1_sel:BYTE_0
	s_waitcnt vmcnt(3)
	v_pk_mul_f32 v[76:77], v[90:91], v[92:93] op_sel:[1,0] op_sel_hi:[0,1]
	v_lshl_or_b32 v23, v23, 3, v20
	global_load_dwordx2 v[48:49], v14, s[16:17]
	global_load_dwordx2 v[78:79], v23, s[16:17]
	v_mul_f32_e32 v14, v90, v92
	v_add_f32_e32 v17, v76, v77
	v_mov_b32_e32 v76, v74
	v_mov_b32_e32 v77, v50
	;; [unrolled: 1-line block ×3, first 2 shown]
	v_mul_f32_e32 v82, v34, v87
	v_fma_f32 v14, -v91, v93, v14
	v_pk_add_f32 v[76:77], v[76:77], v[50:51] neg_lo:[0,1] neg_hi:[0,1]
	v_mov_b32_e32 v34, v55
	s_waitcnt vmcnt(4)
	v_mul_f32_e32 v18, v14, v95
	v_pk_add_f32 v[50:51], v[54:55], v[34:35]
	v_mov_b32_e32 v74, v54
	v_mov_b32_e32 v75, v42
	;; [unrolled: 1-line block ×7, first 2 shown]
	v_fmac_f32_e32 v47, v88, v85
	v_fmac_f32_e32 v18, v94, v17
	v_mul_f32_e32 v17, v17, v95
	v_pk_add_f32 v[54:55], v[74:75], v[54:55] neg_lo:[0,1] neg_hi:[0,1]
	v_pk_add_f32 v[74:75], v[76:77], v[34:35]
	v_mov_b32_e32 v84, v45
	v_mov_b32_e32 v85, v76
	;; [unrolled: 1-line block ×3, first 2 shown]
	v_pk_add_f32 v[22:23], v[42:43], v[22:23]
	v_mov_b32_e32 v42, v19
	v_mov_b32_e32 v43, v16
	;; [unrolled: 1-line block ×4, first 2 shown]
	v_fmac_f32_e32 v82, v86, v37
	v_fma_f32 v14, v94, v14, -v17
	v_mov_b32_e32 v37, v45
	v_mov_b32_e32 v17, v21
	v_pk_add_f32 v[76:77], v[84:85], v[76:77] neg_lo:[0,1] neg_hi:[0,1]
	v_pk_add_f32 v[34:35], v[42:43], v[34:35] neg_lo:[0,1] neg_hi:[0,1]
	v_pk_add_f32 v[16:17], v[36:37], v[16:17]
	v_mov_b32_e32 v36, v34
	v_mov_b32_e32 v37, v55
	;; [unrolled: 1-line block ×4, first 2 shown]
	v_pk_add_f32 v[36:37], v[36:37], v[42:43] neg_lo:[0,1] neg_hi:[0,1]
	v_mov_b32_e32 v42, v54
	v_pk_add_f32 v[84:85], v[34:35], v[76:77]
	v_mov_b32_e32 v35, v77
	v_mov_b32_e32 v19, v50
	v_pk_add_f32 v[42:43], v[42:43], v[34:35] neg_lo:[0,1] neg_hi:[0,1]
	v_pk_add_f32 v[34:35], v[16:17], v[18:19]
	v_pk_add_f32 v[86:87], v[74:75], v[22:23]
	v_mov_b32_e32 v34, v16
	v_mov_b32_e32 v87, v23
	v_pk_add_f32 v[86:87], v[86:87], v[34:35]
	v_mov_b32_e32 v75, v23
	v_pk_add_f32 v[70:71], v[86:87], v[70:71]
	v_pk_mul_f32 v[92:93], v[42:43], s[20:21]
	v_mul_f32_e32 v19, v71, v33
	v_fma_f32 v34, v70, v27, -v19
	v_lshlrev_b32_sdwa v19, v1, v80 dst_sel:DWORD dst_unused:UNUSED_PAD src0_sel:DWORD src1_sel:BYTE_1
	global_load_dwordx2 v[88:89], v19, s[16:17] offset:2048
	v_bfe_u32 v19, v80, 16, 8
	v_lshl_or_b32 v19, v19, 3, v20
	global_load_dwordx2 v[90:91], v19, s[16:17]
	v_mul_f32_e32 v35, v70, v33
	v_fmac_f32_e32 v35, v71, v27
	v_pk_fma_f32 v[70:71], v[86:87], s[24:25], v[70:71] op_sel_hi:[1,0,1] neg_lo:[1,0,0] neg_hi:[1,0,0]
	v_mov_b32_e32 v86, v16
	v_mov_b32_e32 v87, v50
	v_pk_add_f32 v[86:87], v[86:87], v[74:75] neg_lo:[0,1] neg_hi:[0,1]
	v_mov_b32_e32 v75, v17
	v_pk_add_f32 v[16:17], v[22:23], v[16:17] neg_lo:[0,1] neg_hi:[0,1]
	;; [unrolled: 2-line block ×3, first 2 shown]
	v_pk_add_f32 v[74:75], v[84:85], v[54:55]
	v_pk_add_f32 v[54:55], v[76:77], v[54:55] neg_lo:[0,1] neg_hi:[0,1]
	v_pk_mul_f32 v[76:77], v[86:87], s[22:23]
	v_pk_mul_f32 v[84:85], v[36:37], s[26:27]
	;; [unrolled: 1-line block ×3, first 2 shown]
	v_mov_b32_e32 v37, v77
	v_mov_b32_e32 v36, v86
	;; [unrolled: 1-line block ×4, first 2 shown]
	v_pk_fma_f32 v[36:37], v[22:23], s[30:31], v[36:37] op_sel_hi:[1,0,1] neg_lo:[1,0,1] neg_hi:[1,0,1]
	v_pk_fma_f32 v[50:51], v[54:55], s[28:29], v[50:51] op_sel_hi:[1,0,1] neg_lo:[1,0,1] neg_hi:[1,0,1]
	v_pk_add_f32 v[36:37], v[36:37], v[70:71]
	v_pk_fma_f32 v[50:51], v[74:75], s[18:19], v[50:51] op_sel_hi:[1,0,1]
	v_pk_fma_f32 v[16:17], v[16:17], s[0:1], v[76:77]
	v_pk_add_f32 v[94:95], v[50:51], v[36:37]
	v_pk_add_f32 v[96:97], v[36:37], v[50:51] neg_lo:[0,1] neg_hi:[0,1]
	v_mov_b32_e32 v36, v95
	v_mov_b32_e32 v37, v96
	v_mul_f32_e32 v21, v97, v82
	v_pk_mul_f32 v[18:19], v[36:37], v[18:19] op_sel_hi:[1,0]
	v_fma_f32 v50, v94, v81, -v21
	v_mul_f32_e32 v51, v94, v82
	v_mov_b32_e32 v94, v96
	v_pk_fma_f32 v[82:83], v[94:95], v[14:15], v[18:19] op_sel_hi:[1,0,1]
	v_pk_fma_f32 v[36:37], v[96:97], v[14:15], v[18:19] neg_lo:[0,0,1] neg_hi:[0,0,1]
	s_waitcnt vmcnt(4)
	v_mul_f32_e32 v14, v56, v72
	v_fma_f32 v21, -v57, v73, v14
	v_pk_mul_f32 v[18:19], v[56:57], v[72:73] op_sel:[1,0] op_sel_hi:[0,1]
	v_mov_b32_e32 v77, v87
	v_pk_fma_f32 v[72:73], v[42:43], s[20:21], v[84:85]
	v_mov_b32_e32 v85, v93
	v_pk_fma_f32 v[22:23], v[22:23], s[30:31], v[76:77] op_sel_hi:[1,0,1] neg_lo:[0,0,1] neg_hi:[0,0,1]
	v_pk_fma_f32 v[42:43], v[54:55], s[28:29], v[84:85] op_sel_hi:[1,0,1] neg_lo:[0,0,1] neg_hi:[0,0,1]
	v_pk_add_f32 v[22:23], v[22:23], v[70:71]
	v_pk_fma_f32 v[42:43], v[74:75], s[18:19], v[42:43] op_sel_hi:[1,0,1]
	v_add_f32_e32 v18, v18, v19
	s_waitcnt vmcnt(2)
	v_mul_f32_e32 v14, v21, v79
	v_pk_add_f32 v[76:77], v[22:23], v[42:43] neg_lo:[0,1] neg_hi:[0,1]
	v_pk_add_f32 v[22:23], v[22:23], v[42:43]
	v_fmac_f32_e32 v14, v78, v18
	v_mov_b32_e32 v42, v23
	v_mov_b32_e32 v43, v76
	v_mul_f32_e32 v18, v18, v79
	v_pk_mul_f32 v[42:43], v[42:43], v[14:15] op_sel_hi:[1,0]
	v_mul_f32_e32 v14, v77, v47
	v_fma_f32 v18, v78, v21, -v18
	v_fma_f32 v54, v22, v44, -v14
	v_mul_f32_e32 v55, v22, v47
	v_mov_b32_e32 v22, v76
	v_pk_fma_f32 v[22:23], v[22:23], v[18:19], v[42:43] op_sel_hi:[1,0,1]
	v_pk_fma_f32 v[56:57], v[76:77], v[18:19], v[42:43] neg_lo:[0,0,1] neg_hi:[0,0,1]
	v_and_b32_e32 v19, 31, v59
	v_mul_lo_u32 v21, v60, v19
	v_lshlrev_b32_sdwa v14, v1, v21 dst_sel:DWORD dst_unused:UNUSED_PAD src0_sel:DWORD src1_sel:BYTE_0
	v_fmac_f32_e32 v55, v77, v44
	v_mov_b32_e32 v27, v15
	v_lshlrev_b32_sdwa v15, v1, v21 dst_sel:DWORD dst_unused:UNUSED_PAD src0_sel:DWORD src1_sel:BYTE_1
	global_load_dwordx2 v[42:43], v14, s[16:17]
	global_load_dwordx2 v[44:45], v15, s[16:17] offset:2048
	v_pk_add_f32 v[16:17], v[16:17], v[70:71]
	v_cmp_gt_u32_e64 s[0:1], 56, v0
	v_mov_b32_e32 v57, v23
	v_mov_b32_e32 v33, v25
	;; [unrolled: 1-line block ×3, first 2 shown]
	v_fmac_f32_e32 v51, v97, v81
	v_mov_b32_e32 v47, v53
	s_waitcnt vmcnt(3)
	v_mul_f32_e32 v14, v48, v88
	v_fma_f32 v18, -v49, v89, v14
	v_pk_mul_f32 v[14:15], v[48:49], v[88:89] op_sel:[1,0] op_sel_hi:[0,1]
	v_pk_fma_f32 v[48:49], v[74:75], s[18:19], v[72:73] op_sel_hi:[1,0,1]
	v_add_f32_e32 v15, v14, v15
	s_waitcnt vmcnt(2)
	v_mul_f32_e32 v14, v18, v91
	v_pk_add_f32 v[70:71], v[48:49], v[16:17]
	v_pk_add_f32 v[16:17], v[16:17], v[48:49] neg_lo:[0,1] neg_hi:[0,1]
	v_fmac_f32_e32 v14, v90, v15
	v_mul_f32_e32 v15, v15, v91
	v_mul_f32_e32 v0, v17, v52
	;; [unrolled: 1-line block ×3, first 2 shown]
	v_mov_b32_e32 v22, v71
	v_mov_b32_e32 v23, v16
	v_fma_f32 v18, v90, v18, -v15
	v_fma_f32 v106, v70, v24, -v0
	v_fmac_f32_e32 v107, v17, v24
	v_mov_b32_e32 v24, v16
	v_mov_b32_e32 v25, v71
	v_pk_mul_f32 v[14:15], v[22:23], v[14:15] op_sel_hi:[1,0]
	v_or_b32_e32 v52, 0xa0, v19
	v_pk_fma_f32 v[48:49], v[16:17], v[18:19], v[14:15] neg_lo:[0,0,1] neg_hi:[0,0,1]
	v_pk_fma_f32 v[14:15], v[24:25], v[18:19], v[14:15] op_sel_hi:[1,0,1]
	v_mul_lo_u32 v52, v60, v52
	v_or_b32_e32 v14, 32, v19
	v_or_b32_e32 v17, 64, v19
	;; [unrolled: 1-line block ×4, first 2 shown]
	v_lshlrev_b32_sdwa v82, v1, v52 dst_sel:DWORD dst_unused:UNUSED_PAD src0_sel:DWORD src1_sel:BYTE_0
	v_lshlrev_b32_sdwa v83, v1, v52 dst_sel:DWORD dst_unused:UNUSED_PAD src0_sel:DWORD src1_sel:BYTE_1
	v_bfe_u32 v52, v52, 16, 8
	v_mul_lo_u32 v14, v60, v14
	v_mul_lo_u32 v17, v60, v17
	;; [unrolled: 1-line block ×4, first 2 shown]
	v_lshl_or_b32 v112, v52, 3, v20
	v_or_b32_e32 v52, 0xc0, v19
	v_mov_b32_e32 v49, v15
	v_bfe_u32 v0, v21, 16, 8
	v_lshlrev_b32_sdwa v15, v1, v14 dst_sel:DWORD dst_unused:UNUSED_PAD src0_sel:DWORD src1_sel:BYTE_0
	v_lshlrev_b32_sdwa v16, v1, v14 dst_sel:DWORD dst_unused:UNUSED_PAD src0_sel:DWORD src1_sel:BYTE_1
	v_bfe_u32 v14, v14, 16, 8
	v_lshlrev_b32_sdwa v18, v1, v17 dst_sel:DWORD dst_unused:UNUSED_PAD src0_sel:DWORD src1_sel:BYTE_0
	v_lshlrev_b32_sdwa v21, v1, v17 dst_sel:DWORD dst_unused:UNUSED_PAD src0_sel:DWORD src1_sel:BYTE_1
	;; [unrolled: 3-line block ×4, first 2 shown]
	v_bfe_u32 v25, v25, 16, 8
	v_mul_lo_u32 v52, v60, v52
	v_lshl_or_b32 v0, v0, 3, v20
	v_lshl_or_b32 v14, v14, 3, v20
	;; [unrolled: 1-line block ×5, first 2 shown]
	v_lshlrev_b32_sdwa v113, v1, v52 dst_sel:DWORD dst_unused:UNUSED_PAD src0_sel:DWORD src1_sel:BYTE_0
	v_lshlrev_b32_sdwa v1, v1, v52 dst_sel:DWORD dst_unused:UNUSED_PAD src0_sel:DWORD src1_sel:BYTE_1
	v_bfe_u32 v52, v52, 16, 8
	v_mul_u32_u24_e32 v19, 6, v19
	v_lshl_or_b32 v114, v52, 3, v20
	v_lshlrev_b32_e32 v115, 3, v19
	global_load_dwordx2 v[104:105], v0, s[16:17]
	global_load_dwordx2 v[100:101], v15, s[16:17]
	global_load_dwordx2 v[102:103], v16, s[16:17] offset:2048
	global_load_dwordx2 v[98:99], v14, s[16:17]
	global_load_dwordx2 v[94:95], v18, s[16:17]
	global_load_dwordx2 v[96:97], v21, s[16:17] offset:2048
	;; [unrolled: 3-line block ×5, first 2 shown]
                                        ; kill: killed $vgpr21
                                        ; kill: killed $vgpr14
                                        ; kill: killed $vgpr18
                                        ; kill: killed $vgpr16
                                        ; kill: killed $vgpr0
                                        ; kill: killed $vgpr15
                                        ; kill: killed $vgpr83
                                        ; kill: killed $vgpr25
                                        ; kill: killed $vgpr82
                                        ; kill: killed $vgpr77
                                        ; kill: killed $vgpr22
                                        ; kill: killed $vgpr76
                                        ; kill: killed $vgpr24
                                        ; kill: killed $vgpr17
                                        ; kill: killed $vgpr23
	global_load_dwordx2 v[86:87], v112, s[16:17]
	s_nop 0
	global_load_dwordx2 v[82:83], v113, s[16:17]
	global_load_dwordx2 v[84:85], v1, s[16:17] offset:2048
	global_load_dwordx2 v[76:77], v114, s[16:17]
	global_load_dwordx4 v[18:21], v115, s[14:15] offset:272
	global_load_dwordx4 v[14:17], v115, s[14:15] offset:256
	;; [unrolled: 1-line block ×3, first 2 shown]
	s_movk_i32 s18, 0xc0
	s_cbranch_vccnz .LBB0_20
; %bb.19:
	v_mad_u64_u32 v[0:1], s[2:3], s10, v58, 0
	v_mov_b32_e32 v112, v1
	v_mad_u64_u32 v[112:113], s[2:3], s11, v58, v[112:113]
	v_mov_b32_e32 v1, v112
	;; [unrolled: 2-line block ×3, first 2 shown]
	v_mad_u64_u32 v[114:115], s[2:3], s5, v63, v[114:115]
	s_lshl_b64 s[2:3], s[6:7], 3
	s_add_u32 s2, s12, s2
	s_addc_u32 s3, s13, s3
	v_mov_b32_e32 v113, v114
	v_lshl_add_u64 v[0:1], v[0:1], 3, s[2:3]
	v_lshl_add_u64 v[112:113], v[112:113], 3, v[0:1]
	global_store_dwordx2 v[112:113], v[28:29], off
	v_mad_u64_u32 v[112:113], s[2:3], s4, v7, 0
	v_mov_b32_e32 v114, v113
	v_mad_u64_u32 v[114:115], s[2:3], s5, v7, v[114:115]
	v_mov_b32_e32 v113, v114
	v_lshl_add_u64 v[112:113], v[112:113], 3, v[0:1]
	global_store_dwordx2 v[112:113], v[30:31], off
	v_mad_u64_u32 v[112:113], s[2:3], s4, v67, 0
	v_mov_b32_e32 v114, v113
	v_mad_u64_u32 v[114:115], s[2:3], s5, v67, v[114:115]
	v_mov_b32_e32 v113, v114
	;; [unrolled: 6-line block ×6, first 2 shown]
	v_lshl_add_u64 v[108:109], v[110:111], 3, v[0:1]
	global_store_dwordx2 v[108:109], v[26:27], off
	v_lshrrev_b32_e32 v108, 5, v62
	v_mad_u64_u32 v[108:109], s[2:3], v108, s18, v[62:63]
	v_mad_u64_u32 v[110:111], s[2:3], s4, v108, 0
	v_mov_b32_e32 v112, v111
	v_mad_u64_u32 v[112:113], s[2:3], s5, v108, v[112:113]
	v_mov_b32_e32 v111, v112
	v_lshl_add_u64 v[110:111], v[110:111], 3, v[0:1]
	v_add_u32_e32 v109, 32, v108
	global_store_dwordx2 v[110:111], v[34:35], off
	v_mad_u64_u32 v[110:111], s[2:3], s4, v109, 0
	v_mov_b32_e32 v112, v111
	v_mad_u64_u32 v[112:113], s[2:3], s5, v109, v[112:113]
	v_mov_b32_e32 v111, v112
	v_lshl_add_u64 v[110:111], v[110:111], 3, v[0:1]
	v_add_u32_e32 v109, 64, v108
	global_store_dwordx2 v[110:111], v[106:107], off
	v_mad_u64_u32 v[110:111], s[2:3], s4, v109, 0
	v_mov_b32_e32 v112, v111
	v_mad_u64_u32 v[112:113], s[2:3], s5, v109, v[112:113]
	v_mov_b32_e32 v111, v112
	v_lshl_add_u64 v[110:111], v[110:111], 3, v[0:1]
	v_add_u32_e32 v109, 0x60, v108
	global_store_dwordx2 v[110:111], v[50:51], off
	v_mad_u64_u32 v[110:111], s[2:3], s4, v109, 0
	v_mov_b32_e32 v112, v111
	v_mad_u64_u32 v[112:113], s[2:3], s5, v109, v[112:113]
	v_mov_b32_e32 v111, v112
	v_lshl_add_u64 v[110:111], v[110:111], 3, v[0:1]
	v_add_u32_e32 v109, 0x80, v108
	global_store_dwordx2 v[110:111], v[56:57], off
	v_mad_u64_u32 v[110:111], s[2:3], s4, v109, 0
	v_mov_b32_e32 v112, v111
	v_mad_u64_u32 v[112:113], s[2:3], s5, v109, v[112:113]
	v_mov_b32_e32 v111, v112
	v_lshl_add_u64 v[110:111], v[110:111], 3, v[0:1]
	v_add_u32_e32 v109, 0xa0, v108
	global_store_dwordx2 v[110:111], v[54:55], off
	v_mad_u64_u32 v[110:111], s[2:3], s4, v109, 0
	v_mov_b32_e32 v112, v111
	v_mad_u64_u32 v[112:113], s[2:3], s5, v109, v[112:113]
	v_mov_b32_e32 v111, v112
	v_lshl_add_u64 v[110:111], v[110:111], 3, v[0:1]
	global_store_dwordx2 v[110:111], v[36:37], off
	v_add_u32_e32 v111, 0xc0, v108
	v_mad_u64_u32 v[108:109], s[2:3], s4, v111, 0
	v_mov_b32_e32 v110, v109
	v_mad_u64_u32 v[110:111], s[2:3], s5, v111, v[110:111]
	v_mov_b32_e32 v109, v110
	v_lshl_add_u64 v[108:109], v[108:109], 3, v[0:1]
	s_and_b64 s[2:3], s[0:1], exec
	global_store_dwordx2 v[108:109], v[48:49], off
	s_cbranch_execz .LBB0_21
	s_branch .LBB0_24
.LBB0_20:
	s_mov_b64 s[2:3], 0
                                        ; implicit-def: $vgpr0_vgpr1
.LBB0_21:
	v_cmp_gt_u64_e32 vcc, s[8:9], v[60:61]
                                        ; implicit-def: $vgpr0_vgpr1
	s_and_saveexec_b64 s[8:9], vcc
	s_cbranch_execz .LBB0_23
; %bb.22:
	v_mad_u64_u32 v[0:1], s[14:15], s10, v58, 0
	v_mov_b32_e32 v60, v1
	v_mad_u64_u32 v[60:61], s[10:11], s11, v58, v[60:61]
	v_mov_b32_e32 v1, v60
	v_mad_u64_u32 v[60:61], s[10:11], s4, v63, 0
	s_lshl_b64 s[6:7], s[6:7], 3
	v_mov_b32_e32 v58, v61
	s_add_u32 s6, s12, s6
	v_mad_u64_u32 v[108:109], s[10:11], s5, v63, v[58:59]
	s_addc_u32 s7, s13, s7
	v_mov_b32_e32 v61, v108
	v_lshl_add_u64 v[0:1], v[0:1], 3, s[6:7]
	v_lshl_add_u64 v[60:61], v[60:61], 3, v[0:1]
	global_store_dwordx2 v[60:61], v[28:29], off
	v_mad_u64_u32 v[28:29], s[6:7], s4, v7, 0
	v_mov_b32_e32 v58, v29
	v_mad_u64_u32 v[60:61], s[6:7], s5, v7, v[58:59]
	v_mov_b32_e32 v29, v60
	v_lshl_add_u64 v[28:29], v[28:29], 3, v[0:1]
	global_store_dwordx2 v[28:29], v[30:31], off
	v_mad_u64_u32 v[28:29], s[6:7], s4, v67, 0
	v_mov_b32_e32 v30, v29
	v_mad_u64_u32 v[30:31], s[6:7], s5, v67, v[30:31]
	v_mov_b32_e32 v29, v30
	v_lshl_add_u64 v[28:29], v[28:29], 3, v[0:1]
	v_or_b32_e32 v7, 0x60, v63
	global_store_dwordx2 v[28:29], v[38:39], off
	v_mad_u64_u32 v[28:29], s[6:7], s4, v7, 0
	v_mov_b32_e32 v30, v29
	v_mad_u64_u32 v[30:31], s[6:7], s5, v7, v[30:31]
	v_mov_b32_e32 v29, v30
	v_lshl_add_u64 v[28:29], v[28:29], 3, v[0:1]
	v_or_b32_e32 v7, 0x80, v63
	;; [unrolled: 7-line block ×4, first 2 shown]
	global_store_dwordx2 v[28:29], v[32:33], off
	v_mad_u64_u32 v[28:29], s[6:7], s4, v7, 0
	v_mov_b32_e32 v30, v29
	v_mad_u64_u32 v[30:31], s[6:7], s5, v7, v[30:31]
	v_mov_b32_e32 v29, v30
	s_movk_i32 s10, 0xc0
	v_lshl_add_u64 v[28:29], v[28:29], 3, v[0:1]
	v_lshrrev_b32_e32 v7, 5, v62
	global_store_dwordx2 v[28:29], v[26:27], off
	v_mad_u64_u32 v[26:27], s[6:7], v7, s10, v[62:63]
	v_mad_u64_u32 v[28:29], s[6:7], s4, v26, 0
	v_mov_b32_e32 v30, v29
	v_mad_u64_u32 v[30:31], s[6:7], s5, v26, v[30:31]
	v_mov_b32_e32 v29, v30
	v_lshl_add_u64 v[28:29], v[28:29], 3, v[0:1]
	v_add_u32_e32 v7, 32, v26
	global_store_dwordx2 v[28:29], v[34:35], off
	v_mad_u64_u32 v[28:29], s[6:7], s4, v7, 0
	v_mov_b32_e32 v30, v29
	v_mad_u64_u32 v[30:31], s[6:7], s5, v7, v[30:31]
	v_mov_b32_e32 v29, v30
	v_lshl_add_u64 v[28:29], v[28:29], 3, v[0:1]
	v_add_u32_e32 v7, 64, v26
	global_store_dwordx2 v[28:29], v[106:107], off
	;; [unrolled: 7-line block ×5, first 2 shown]
	v_mad_u64_u32 v[28:29], s[6:7], s4, v7, 0
	v_mov_b32_e32 v30, v29
	v_mad_u64_u32 v[30:31], s[6:7], s5, v7, v[30:31]
	v_mov_b32_e32 v29, v30
	v_add_u32_e32 v7, 0xc0, v26
	v_lshl_add_u64 v[28:29], v[28:29], 3, v[0:1]
	v_mad_u64_u32 v[26:27], s[6:7], s4, v7, 0
	global_store_dwordx2 v[28:29], v[36:37], off
	v_mov_b32_e32 v28, v27
	v_mad_u64_u32 v[28:29], s[6:7], s5, v7, v[28:29]
	v_mov_b32_e32 v27, v28
	s_andn2_b64 s[2:3], s[2:3], exec
	s_and_b64 s[0:1], s[0:1], exec
	v_lshl_add_u64 v[26:27], v[26:27], 3, v[0:1]
	s_or_b64 s[2:3], s[2:3], s[0:1]
	global_store_dwordx2 v[26:27], v[48:49], off
.LBB0_23:
	s_or_b64 exec, exec, s[8:9]
.LBB0_24:
	s_and_saveexec_b64 s[0:1], s[2:3]
	s_cbranch_execnz .LBB0_26
; %bb.25:
	s_endpgm
.LBB0_26:
	v_mov_b32_e32 v28, v12
	s_waitcnt vmcnt(0)
	v_mul_f32_e32 v2, v2, v23
	v_mul_f32_e32 v12, v12, v21
	v_mov_b32_e32 v26, v13
	v_fmac_f32_e32 v2, v3, v22
	v_mul_f32_e32 v3, v11, v19
	v_fmac_f32_e32 v12, v13, v20
	v_mul_f32_e32 v13, v42, v45
	v_fma_f32 v7, v10, v18, -v3
	v_mul_f32_e32 v3, v43, v45
	v_fmac_f32_e32 v13, v43, v44
	v_fma_f32 v3, v42, v44, -v3
	v_mul_f32_e32 v32, v13, v105
	v_fma_f32 v37, v104, v3, -v32
	v_mul_f32_e32 v41, v3, v105
	v_mul_f32_e32 v3, v101, v103
	v_fmac_f32_e32 v41, v104, v13
	v_fma_f32 v3, v100, v102, -v3
	v_mul_f32_e32 v13, v100, v103
	v_fmac_f32_e32 v13, v101, v102
	v_mul_f32_e32 v54, v3, v99
	v_mul_f32_e32 v32, v13, v99
	v_fmac_f32_e32 v54, v98, v13
	v_mul_f32_e32 v13, v94, v97
	v_fma_f32 v45, v98, v3, -v32
	v_mul_f32_e32 v3, v95, v97
	v_fmac_f32_e32 v13, v95, v96
	v_fma_f32 v3, v94, v96, -v3
	v_mul_f32_e32 v32, v13, v93
	v_fma_f32 v55, v92, v3, -v32
	v_mul_f32_e32 v56, v3, v93
	v_mul_f32_e32 v3, v88, v90
	v_fma_f32 v3, -v89, v91, v3
	v_pk_mul_f32 v[34:35], v[88:89], v[90:91] op_sel:[1,0] op_sel_hi:[0,1]
	v_fmac_f32_e32 v56, v92, v13
	v_add_f32_e32 v13, v34, v35
	v_mul_f32_e32 v36, v3, v81
	v_mul_f32_e32 v32, v13, v81
	v_fmac_f32_e32 v36, v80, v13
	v_mul_f32_e32 v13, v74, v79
	v_fma_f32 v34, v80, v3, -v32
	v_mul_f32_e32 v3, v75, v79
	v_fmac_f32_e32 v13, v75, v78
	v_fma_f32 v3, v74, v78, -v3
	v_mul_f32_e32 v32, v13, v73
	v_fma_f32 v35, v72, v3, -v32
	v_mul_f32_e32 v57, v3, v73
	v_mul_f32_e32 v3, v52, v70
	v_pk_mul_f32 v[38:39], v[52:53], v[70:71] op_sel:[1,0] op_sel_hi:[0,1]
	v_fmac_f32_e32 v57, v72, v13
	v_fma_f32 v3, -v53, v71, v3
	v_add_f32_e32 v13, v38, v39
	v_mul_f32_e32 v32, v13, v87
	v_mul_f32_e32 v40, v3, v87
	v_pk_mul_f32 v[42:43], v[82:83], v[84:85] op_sel:[1,0] op_sel_hi:[0,1]
	v_fma_f32 v38, v86, v3, -v32
	v_fmac_f32_e32 v40, v86, v13
	v_mul_f32_e32 v3, v82, v84
	v_add_f32_e32 v13, v42, v43
	v_fma_f32 v3, -v83, v85, v3
	v_mul_f32_e32 v32, v13, v77
	v_mov_b32_e32 v30, v25
	v_mov_b32_e32 v31, v14
	v_fma_f32 v42, v76, v3, -v32
	v_mul_f32_e32 v44, v3, v77
	v_mul_f32_e32 v3, v5, v25
	v_mov_b32_e32 v46, v4
	v_mov_b32_e32 v47, v6
	;; [unrolled: 1-line block ×3, first 2 shown]
	v_add_f32_e32 v33, v2, v12
	v_fma_f32 v25, v4, v24, -v3
	v_pk_mul_f32 v[30:31], v[46:47], v[30:31]
	v_mov_b32_e32 v6, v69
	v_mov_b32_e32 v4, v69
	;; [unrolled: 1-line block ×5, first 2 shown]
	v_pk_fma_f32 v[48:49], v[6:7], v[32:33], v[30:31] op_sel:[0,0,1] op_sel_hi:[1,1,0] neg_lo:[1,0,0] neg_hi:[1,0,0]
	v_pk_fma_f32 v[4:5], v[4:5], v[46:47], v[30:31] op_sel:[0,0,1] op_sel_hi:[1,1,0]
	v_mov_b32_e32 v31, v14
	v_mov_b32_e32 v14, v23
	;; [unrolled: 1-line block ×3, first 2 shown]
	v_pk_mul_f32 v[14:15], v[66:67], v[14:15]
	v_mov_b32_e32 v47, v18
	v_mov_b32_e32 v50, v9
	;; [unrolled: 1-line block ×4, first 2 shown]
	v_pk_fma_f32 v[22:23], v[68:69], v[30:31], v[14:15] neg_lo:[0,0,1] neg_hi:[0,0,1]
	v_pk_fma_f32 v[14:15], v[68:69], v[30:31], v[14:15]
	v_mov_b32_e32 v31, v11
	v_pk_mul_f32 v[10:11], v[50:51], v[18:19]
	v_mov_b32_e32 v27, v8
	v_mov_b32_e32 v29, v9
	;; [unrolled: 1-line block ×4, first 2 shown]
	v_pk_fma_f32 v[8:9], v[8:9], v[16:17], v[10:11] op_sel_hi:[0,1,1] neg_lo:[0,0,1] neg_hi:[0,0,1]
	v_mov_b32_e32 v19, v16
	v_mov_b32_e32 v16, v21
	v_pk_fma_f32 v[10:11], v[30:31], v[46:47], v[10:11]
	v_mov_b32_e32 v18, v20
	v_pk_mul_f32 v[16:17], v[26:27], v[16:17]
	v_mov_b32_e32 v49, v5
	v_mov_b32_e32 v9, v11
	v_pk_fma_f32 v[20:21], v[28:29], v[18:19], v[16:17] neg_lo:[0,0,1] neg_hi:[0,0,1]
	v_pk_fma_f32 v[16:17], v[28:29], v[18:19], v[16:17]
	v_fmac_f32_e32 v44, v76, v13
	v_mov_b32_e32 v23, v15
	v_mov_b32_e32 v21, v17
	;; [unrolled: 1-line block ×6, first 2 shown]
	v_pk_add_f32 v[10:11], v[48:49], v[8:9]
	v_mov_b32_e32 v16, v17
	v_mov_b32_e32 v17, v8
	;; [unrolled: 1-line block ×4, first 2 shown]
	v_pk_add_f32 v[2:3], v[2:3], v[12:13] neg_lo:[0,1] neg_hi:[0,1]
	v_add_f32_e32 v4, v25, v7
	v_pk_add_f32 v[6:7], v[24:25], v[6:7] neg_lo:[0,1] neg_hi:[0,1]
	v_pk_add_f32 v[12:13], v[22:23], v[20:21]
	v_pk_add_f32 v[8:9], v[16:17], v[8:9] neg_lo:[0,1] neg_hi:[0,1]
	s_mov_b32 s8, 0x3eae86e6
	v_add_f32_e32 v14, v4, v12
	v_add_f32_e32 v17, v11, v33
	v_mov_b32_e32 v32, v10
	v_mov_b32_e32 v5, v13
	;; [unrolled: 1-line block ×8, first 2 shown]
	s_mov_b32 s2, 0x3d64c772
	s_mov_b32 s9, 0xbf08b237
	v_pk_add_f32 v[18:19], v[32:33], v[4:5] neg_lo:[0,1] neg_hi:[0,1]
	v_pk_add_f32 v[22:23], v[8:9], v[6:7]
	v_pk_add_f32 v[24:25], v[24:25], v[26:27] neg_lo:[0,1] neg_hi:[0,1]
	v_mov_b32_e32 v26, v2
	v_mov_b32_e32 v9, v7
	v_pk_add_f32 v[14:15], v[14:15], v[16:17]
	s_mov_b32 s3, 0x3f4a47b2
	s_mov_b32 s10, s9
	;; [unrolled: 1-line block ×3, first 2 shown]
	v_pk_add_f32 v[20:21], v[12:13], v[10:11] neg_lo:[0,1] neg_hi:[0,1]
	v_pk_add_f32 v[8:9], v[26:27], v[8:9] neg_lo:[0,1] neg_hi:[0,1]
	v_pk_add_f32 v[16:17], v[22:23], v[2:3]
	v_pk_add_f32 v[22:23], v[64:65], v[14:15]
	s_mov_b32 s0, 0xbf955555
	v_pk_mul_f32 v[18:19], v[18:19], s[2:3]
	s_mov_b32 s6, s3
	s_mov_b32 s7, s2
	v_pk_mul_f32 v[24:25], v[24:25], s[10:11]
	v_pk_mul_f32 v[26:27], v[20:21], s[6:7]
	s_mov_b32 s2, 0x3ee1c552
	v_pk_mul_f32 v[28:29], v[8:9], s[8:9]
	v_pk_fma_f32 v[14:15], v[14:15], s[0:1], v[22:23] op_sel_hi:[1,0,1]
	v_pk_fma_f32 v[20:21], v[20:21], s[6:7], v[18:19]
	v_pk_fma_f32 v[8:9], v[8:9], s[8:9], v[24:25]
	v_pk_add_f32 v[20:21], v[20:21], v[14:15]
	v_pk_fma_f32 v[8:9], v[16:17], s[2:3], v[8:9] op_sel_hi:[1,0,1]
	v_mul_f32_e32 v5, v23, v41
	v_pk_add_f32 v[30:31], v[8:9], v[20:21]
	v_pk_add_f32 v[8:9], v[20:21], v[8:9] neg_lo:[0,1] neg_hi:[0,1]
	v_fma_f32 v46, v22, v37, -v5
	v_mul_f32_e32 v5, v9, v54
	v_mul_f32_e32 v47, v22, v41
	v_fma_f32 v22, v30, v45, -v5
	v_mov_b32_e32 v5, v11
	v_mov_b32_e32 v13, v33
	v_pk_add_f32 v[4:5], v[4:5], v[12:13] neg_lo:[0,1] neg_hi:[0,1]
	v_pk_add_f32 v[2:3], v[6:7], v[2:3] neg_lo:[0,1] neg_hi:[0,1]
	s_mov_b32 s0, 0x3f3bfb3b
	s_mov_b32 s6, 0x3f5ff5aa
	v_mov_b32_e32 v6, v26
	v_mov_b32_e32 v7, v19
	;; [unrolled: 1-line block ×4, first 2 shown]
	v_pk_fma_f32 v[6:7], v[4:5], s[0:1], v[6:7] op_sel_hi:[1,0,1] neg_lo:[1,0,1] neg_hi:[1,0,1]
	v_pk_fma_f32 v[10:11], v[2:3], s[6:7], v[10:11] op_sel_hi:[1,0,1] neg_lo:[1,0,1] neg_hi:[1,0,1]
	v_pk_add_f32 v[6:7], v[6:7], v[14:15]
	v_pk_fma_f32 v[10:11], v[16:17], s[2:3], v[10:11] op_sel_hi:[1,0,1]
	v_mov_b32_e32 v25, v29
	v_pk_add_f32 v[12:13], v[10:11], v[6:7]
	v_pk_add_f32 v[6:7], v[6:7], v[10:11] neg_lo:[0,1] neg_hi:[0,1]
	v_pk_fma_f32 v[2:3], v[2:3], s[6:7], v[24:25] op_sel_hi:[1,0,1] neg_lo:[0,0,1] neg_hi:[0,0,1]
	v_mul_f32_e32 v19, v7, v56
	v_fma_f32 v32, v12, v55, -v19
	v_mov_b32_e32 v19, v27
	v_pk_fma_f32 v[4:5], v[4:5], s[0:1], v[18:19] op_sel_hi:[1,0,1] neg_lo:[0,0,1] neg_hi:[0,0,1]
	v_pk_fma_f32 v[2:3], v[16:17], s[2:3], v[2:3] op_sel_hi:[1,0,1]
	v_pk_add_f32 v[4:5], v[4:5], v[14:15]
	v_mov_b32_e32 v10, v6
	v_pk_add_f32 v[14:15], v[4:5], v[2:3] neg_lo:[0,1] neg_hi:[0,1]
	v_pk_add_f32 v[2:3], v[4:5], v[2:3]
	v_mov_b32_e32 v17, v14
	v_mov_b32_e32 v16, v3
	;; [unrolled: 1-line block ×4, first 2 shown]
	v_pk_mul_f32 v[16:17], v[16:17], v[36:37] op_sel_hi:[1,0]
	v_mul_f32_e32 v3, v15, v57
	v_pk_fma_f32 v[18:19], v[14:15], v[34:35], v[16:17] neg_lo:[0,0,1] neg_hi:[0,0,1]
	v_pk_fma_f32 v[4:5], v[4:5], v[34:35], v[16:17] op_sel_hi:[1,0,1]
	v_fma_f32 v16, v2, v35, -v3
	v_mul_f32_e32 v17, v2, v57
	v_mov_b32_e32 v2, v13
	v_mov_b32_e32 v3, v6
	;; [unrolled: 1-line block ×3, first 2 shown]
	v_mul_f32_e32 v33, v12, v56
	v_pk_mul_f32 v[2:3], v[2:3], v[40:41] op_sel_hi:[1,0]
	v_fmac_f32_e32 v33, v7, v55
	v_pk_fma_f32 v[6:7], v[6:7], v[38:39], v[2:3] neg_lo:[0,0,1] neg_hi:[0,0,1]
	v_pk_fma_f32 v[2:3], v[10:11], v[38:39], v[2:3] op_sel_hi:[1,0,1]
	v_mad_u64_u32 v[12:13], s[0:1], s4, v59, 0
	v_mov_b32_e32 v2, v13
	v_fmac_f32_e32 v17, v15, v35
	v_mad_u64_u32 v[14:15], s[0:1], s5, v59, v[2:3]
	v_mov_b32_e32 v13, v14
	v_fmac_f32_e32 v47, v23, v37
	v_lshl_add_u64 v[12:13], v[12:13], 3, v[0:1]
	v_add_u32_e32 v4, 60, v63
	global_store_dwordx2 v[12:13], v[46:47], off
	v_mad_u64_u32 v[12:13], s[0:1], s4, v4, 0
	v_mov_b32_e32 v2, v13
	v_mad_u64_u32 v[14:15], s[0:1], s5, v4, v[2:3]
	v_mul_f32_e32 v23, v30, v54
	v_mov_b32_e32 v13, v14
	v_fmac_f32_e32 v23, v9, v45
	v_lshl_add_u64 v[12:13], v[12:13], 3, v[0:1]
	v_add_u32_e32 v4, 0x5c, v63
	global_store_dwordx2 v[12:13], v[22:23], off
	v_mad_u64_u32 v[12:13], s[0:1], s4, v4, 0
	v_mov_b32_e32 v2, v13
	v_mad_u64_u32 v[14:15], s[0:1], s5, v4, v[2:3]
	v_mov_b32_e32 v13, v14
	v_lshl_add_u64 v[12:13], v[12:13], 3, v[0:1]
	v_add_u32_e32 v4, 0x7c, v63
	global_store_dwordx2 v[12:13], v[32:33], off
	v_mad_u64_u32 v[12:13], s[0:1], s4, v4, 0
	v_mov_b32_e32 v2, v13
	v_mad_u64_u32 v[14:15], s[0:1], s5, v4, v[2:3]
	v_add_u32_e32 v7, 0x9c, v63
	v_mov_b32_e32 v13, v14
	v_mov_b32_e32 v19, v5
	v_mad_u64_u32 v[4:5], s[0:1], s4, v7, 0
	v_lshl_add_u64 v[12:13], v[12:13], 3, v[0:1]
	v_mov_b32_e32 v2, v5
	global_store_dwordx2 v[12:13], v[18:19], off
	v_mad_u64_u32 v[12:13], s[0:1], s5, v7, v[2:3]
	v_mov_b32_e32 v5, v12
	v_lshl_add_u64 v[4:5], v[4:5], 3, v[0:1]
	v_add_u32_e32 v7, 0xbc, v63
	global_store_dwordx2 v[4:5], v[16:17], off
	v_mad_u64_u32 v[4:5], s[0:1], s4, v7, 0
	v_mov_b32_e32 v2, v5
	v_mad_u64_u32 v[12:13], s[0:1], s5, v7, v[2:3]
	v_mov_b32_e32 v5, v12
	v_lshl_add_u64 v[4:5], v[4:5], 3, v[0:1]
	v_mov_b32_e32 v7, v3
	global_store_dwordx2 v[4:5], v[6:7], off
	v_add_u32_e32 v5, 0xdc, v63
	v_mad_u64_u32 v[2:3], s[0:1], s4, v5, 0
	v_mov_b32_e32 v10, v31
	v_mov_b32_e32 v11, v8
	;; [unrolled: 1-line block ×5, first 2 shown]
	v_pk_mul_f32 v[10:11], v[10:11], v[44:45] op_sel_hi:[1,0]
	v_mad_u64_u32 v[4:5], s[0:1], s5, v5, v[4:5]
	v_pk_fma_f32 v[8:9], v[8:9], v[42:43], v[10:11] neg_lo:[0,0,1] neg_hi:[0,0,1]
	v_pk_fma_f32 v[10:11], v[20:21], v[42:43], v[10:11] op_sel_hi:[1,0,1]
	v_mov_b32_e32 v3, v4
	v_lshl_add_u64 v[0:1], v[2:3], 3, v[0:1]
	v_mov_b32_e32 v9, v11
	global_store_dwordx2 v[0:1], v[8:9], off
	s_endpgm
	.section	.rodata,"a",@progbits
	.p2align	6, 0x0
	.amdhsa_kernel fft_rtc_fwd_len224_factors_2_2_2_4_7_wgs_196_tpt_14_dim3_sp_ip_CI_sbcc_twdbase8_3step_dirReg
		.amdhsa_group_segment_fixed_size 0
		.amdhsa_private_segment_fixed_size 0
		.amdhsa_kernarg_size 88
		.amdhsa_user_sgpr_count 2
		.amdhsa_user_sgpr_dispatch_ptr 0
		.amdhsa_user_sgpr_queue_ptr 0
		.amdhsa_user_sgpr_kernarg_segment_ptr 1
		.amdhsa_user_sgpr_dispatch_id 0
		.amdhsa_user_sgpr_kernarg_preload_length 0
		.amdhsa_user_sgpr_kernarg_preload_offset 0
		.amdhsa_user_sgpr_private_segment_size 0
		.amdhsa_uses_dynamic_stack 0
		.amdhsa_enable_private_segment 0
		.amdhsa_system_sgpr_workgroup_id_x 1
		.amdhsa_system_sgpr_workgroup_id_y 0
		.amdhsa_system_sgpr_workgroup_id_z 0
		.amdhsa_system_sgpr_workgroup_info 0
		.amdhsa_system_vgpr_workitem_id 0
		.amdhsa_next_free_vgpr 116
		.amdhsa_next_free_sgpr 32
		.amdhsa_accum_offset 116
		.amdhsa_reserve_vcc 1
		.amdhsa_float_round_mode_32 0
		.amdhsa_float_round_mode_16_64 0
		.amdhsa_float_denorm_mode_32 3
		.amdhsa_float_denorm_mode_16_64 3
		.amdhsa_dx10_clamp 1
		.amdhsa_ieee_mode 1
		.amdhsa_fp16_overflow 0
		.amdhsa_tg_split 0
		.amdhsa_exception_fp_ieee_invalid_op 0
		.amdhsa_exception_fp_denorm_src 0
		.amdhsa_exception_fp_ieee_div_zero 0
		.amdhsa_exception_fp_ieee_overflow 0
		.amdhsa_exception_fp_ieee_underflow 0
		.amdhsa_exception_fp_ieee_inexact 0
		.amdhsa_exception_int_div_zero 0
	.end_amdhsa_kernel
	.text
.Lfunc_end0:
	.size	fft_rtc_fwd_len224_factors_2_2_2_4_7_wgs_196_tpt_14_dim3_sp_ip_CI_sbcc_twdbase8_3step_dirReg, .Lfunc_end0-fft_rtc_fwd_len224_factors_2_2_2_4_7_wgs_196_tpt_14_dim3_sp_ip_CI_sbcc_twdbase8_3step_dirReg
                                        ; -- End function
	.section	.AMDGPU.csdata,"",@progbits
; Kernel info:
; codeLenInByte = 13548
; NumSgprs: 38
; NumVgprs: 116
; NumAgprs: 0
; TotalNumVgprs: 116
; ScratchSize: 0
; MemoryBound: 0
; FloatMode: 240
; IeeeMode: 1
; LDSByteSize: 0 bytes/workgroup (compile time only)
; SGPRBlocks: 4
; VGPRBlocks: 14
; NumSGPRsForWavesPerEU: 38
; NumVGPRsForWavesPerEU: 116
; AccumOffset: 116
; Occupancy: 4
; WaveLimiterHint : 1
; COMPUTE_PGM_RSRC2:SCRATCH_EN: 0
; COMPUTE_PGM_RSRC2:USER_SGPR: 2
; COMPUTE_PGM_RSRC2:TRAP_HANDLER: 0
; COMPUTE_PGM_RSRC2:TGID_X_EN: 1
; COMPUTE_PGM_RSRC2:TGID_Y_EN: 0
; COMPUTE_PGM_RSRC2:TGID_Z_EN: 0
; COMPUTE_PGM_RSRC2:TIDIG_COMP_CNT: 0
; COMPUTE_PGM_RSRC3_GFX90A:ACCUM_OFFSET: 28
; COMPUTE_PGM_RSRC3_GFX90A:TG_SPLIT: 0
	.text
	.p2alignl 6, 3212836864
	.fill 256, 4, 3212836864
	.type	__hip_cuid_ebe0613bfec0a43d,@object ; @__hip_cuid_ebe0613bfec0a43d
	.section	.bss,"aw",@nobits
	.globl	__hip_cuid_ebe0613bfec0a43d
__hip_cuid_ebe0613bfec0a43d:
	.byte	0                               ; 0x0
	.size	__hip_cuid_ebe0613bfec0a43d, 1

	.ident	"AMD clang version 19.0.0git (https://github.com/RadeonOpenCompute/llvm-project roc-6.4.0 25133 c7fe45cf4b819c5991fe208aaa96edf142730f1d)"
	.section	".note.GNU-stack","",@progbits
	.addrsig
	.addrsig_sym __hip_cuid_ebe0613bfec0a43d
	.amdgpu_metadata
---
amdhsa.kernels:
  - .agpr_count:     0
    .args:
      - .actual_access:  read_only
        .address_space:  global
        .offset:         0
        .size:           8
        .value_kind:     global_buffer
      - .address_space:  global
        .offset:         8
        .size:           8
        .value_kind:     global_buffer
      - .actual_access:  read_only
        .address_space:  global
        .offset:         16
        .size:           8
        .value_kind:     global_buffer
      - .actual_access:  read_only
        .address_space:  global
        .offset:         24
        .size:           8
        .value_kind:     global_buffer
      - .offset:         32
        .size:           8
        .value_kind:     by_value
      - .actual_access:  read_only
        .address_space:  global
        .offset:         40
        .size:           8
        .value_kind:     global_buffer
      - .actual_access:  read_only
        .address_space:  global
        .offset:         48
        .size:           8
        .value_kind:     global_buffer
      - .offset:         56
        .size:           4
        .value_kind:     by_value
      - .actual_access:  read_only
        .address_space:  global
        .offset:         64
        .size:           8
        .value_kind:     global_buffer
      - .actual_access:  read_only
        .address_space:  global
        .offset:         72
        .size:           8
        .value_kind:     global_buffer
      - .address_space:  global
        .offset:         80
        .size:           8
        .value_kind:     global_buffer
    .group_segment_fixed_size: 0
    .kernarg_segment_align: 8
    .kernarg_segment_size: 88
    .language:       OpenCL C
    .language_version:
      - 2
      - 0
    .max_flat_workgroup_size: 196
    .name:           fft_rtc_fwd_len224_factors_2_2_2_4_7_wgs_196_tpt_14_dim3_sp_ip_CI_sbcc_twdbase8_3step_dirReg
    .private_segment_fixed_size: 0
    .sgpr_count:     38
    .sgpr_spill_count: 0
    .symbol:         fft_rtc_fwd_len224_factors_2_2_2_4_7_wgs_196_tpt_14_dim3_sp_ip_CI_sbcc_twdbase8_3step_dirReg.kd
    .uniform_work_group_size: 1
    .uses_dynamic_stack: false
    .vgpr_count:     116
    .vgpr_spill_count: 0
    .wavefront_size: 64
amdhsa.target:   amdgcn-amd-amdhsa--gfx950
amdhsa.version:
  - 1
  - 2
...

	.end_amdgpu_metadata
